;; amdgpu-corpus repo=ROCm/rocFFT kind=compiled arch=gfx906 opt=O3
	.text
	.amdgcn_target "amdgcn-amd-amdhsa--gfx906"
	.amdhsa_code_object_version 6
	.protected	bluestein_single_back_len286_dim1_sp_op_CI_CI ; -- Begin function bluestein_single_back_len286_dim1_sp_op_CI_CI
	.globl	bluestein_single_back_len286_dim1_sp_op_CI_CI
	.p2align	8
	.type	bluestein_single_back_len286_dim1_sp_op_CI_CI,@function
bluestein_single_back_len286_dim1_sp_op_CI_CI: ; @bluestein_single_back_len286_dim1_sp_op_CI_CI
; %bb.0:
	s_load_dwordx4 s[0:3], s[4:5], 0x28
	v_mul_u32_u24_e32 v1, 0x9d9, v0
	v_lshrrev_b32_e32 v1, 16, v1
	v_lshl_add_u32 v52, s6, 1, v1
	v_mov_b32_e32 v53, 0
	s_waitcnt lgkmcnt(0)
	v_cmp_gt_u64_e32 vcc, s[0:1], v[52:53]
	s_and_saveexec_b64 s[0:1], vcc
	s_cbranch_execz .LBB0_23
; %bb.1:
	s_load_dwordx2 s[8:9], s[4:5], 0x0
	s_load_dwordx2 s[10:11], s[4:5], 0x38
	v_mul_lo_u16_e32 v2, 26, v1
	v_sub_u16_e32 v68, v0, v2
	v_and_b32_e32 v0, 1, v1
	v_mov_b32_e32 v1, 0x11e
	v_cmp_eq_u32_e32 vcc, 1, v0
	v_cndmask_b32_e32 v69, 0, v1, vcc
	v_cmp_gt_u16_e64 s[0:1], 22, v68
	v_lshlrev_b32_e32 v67, 3, v68
	v_lshlrev_b32_e32 v70, 3, v69
	s_and_saveexec_b64 s[6:7], s[0:1]
	s_cbranch_execz .LBB0_3
; %bb.2:
	s_load_dwordx2 s[12:13], s[4:5], 0x18
	s_waitcnt lgkmcnt(0)
	s_load_dwordx4 s[12:15], s[12:13], 0x0
	s_waitcnt lgkmcnt(0)
	v_mad_u64_u32 v[0:1], s[16:17], s14, v52, 0
	v_mad_u64_u32 v[2:3], s[16:17], s12, v68, 0
	;; [unrolled: 1-line block ×4, first 2 shown]
	v_mov_b32_e32 v1, v4
	v_lshlrev_b64 v[0:1], 3, v[0:1]
	v_mov_b32_e32 v3, v5
	v_mov_b32_e32 v6, s3
	v_lshlrev_b64 v[2:3], 3, v[2:3]
	v_add_co_u32_e32 v0, vcc, s2, v0
	v_addc_co_u32_e32 v1, vcc, v6, v1, vcc
	v_add_co_u32_e32 v0, vcc, v0, v2
	s_mul_i32 s2, s13, 0xb0
	s_mul_hi_u32 s3, s12, 0xb0
	v_addc_co_u32_e32 v1, vcc, v1, v3, vcc
	s_add_i32 s2, s3, s2
	s_mul_i32 s3, s12, 0xb0
	v_mov_b32_e32 v3, s2
	v_add_co_u32_e32 v2, vcc, s3, v0
	v_addc_co_u32_e32 v3, vcc, v1, v3, vcc
	v_mov_b32_e32 v5, s2
	v_add_co_u32_e32 v4, vcc, s3, v2
	v_addc_co_u32_e32 v5, vcc, v3, v5, vcc
	;; [unrolled: 3-line block ×3, first 2 shown]
	global_load_dwordx2 v[8:9], v[0:1], off
	global_load_dwordx2 v[10:11], v[2:3], off
	;; [unrolled: 1-line block ×4, first 2 shown]
	global_load_dwordx2 v[16:17], v67, s[8:9]
	global_load_dwordx2 v[18:19], v67, s[8:9] offset:176
	global_load_dwordx2 v[20:21], v67, s[8:9] offset:352
	;; [unrolled: 1-line block ×3, first 2 shown]
	v_mov_b32_e32 v1, s2
	v_add_co_u32_e32 v0, vcc, s3, v6
	v_addc_co_u32_e32 v1, vcc, v7, v1, vcc
	global_load_dwordx2 v[2:3], v[0:1], off
	v_mov_b32_e32 v4, s2
	v_add_co_u32_e32 v0, vcc, s3, v0
	v_addc_co_u32_e32 v1, vcc, v1, v4, vcc
	global_load_dwordx2 v[4:5], v[0:1], off
	;; [unrolled: 4-line block ×4, first 2 shown]
	global_load_dwordx2 v[26:27], v67, s[8:9] offset:704
	global_load_dwordx2 v[28:29], v67, s[8:9] offset:880
	global_load_dwordx2 v[30:31], v67, s[8:9] offset:1056
	global_load_dwordx2 v[32:33], v67, s[8:9] offset:1232
	v_mov_b32_e32 v34, s2
	v_add_co_u32_e32 v0, vcc, s3, v0
	v_addc_co_u32_e32 v1, vcc, v1, v34, vcc
	global_load_dwordx2 v[34:35], v[0:1], off
	v_mov_b32_e32 v36, s2
	v_add_co_u32_e32 v0, vcc, s3, v0
	v_addc_co_u32_e32 v1, vcc, v1, v36, vcc
	global_load_dwordx2 v[36:37], v[0:1], off
	global_load_dwordx2 v[38:39], v67, s[8:9] offset:1408
	global_load_dwordx2 v[40:41], v67, s[8:9] offset:1584
	v_mov_b32_e32 v42, s2
	v_add_co_u32_e32 v0, vcc, s3, v0
	v_addc_co_u32_e32 v1, vcc, v1, v42, vcc
	global_load_dwordx2 v[42:43], v[0:1], off
	v_mov_b32_e32 v44, s2
	v_add_co_u32_e32 v0, vcc, s3, v0
	v_addc_co_u32_e32 v1, vcc, v1, v44, vcc
	global_load_dwordx2 v[44:45], v67, s[8:9] offset:1760
	global_load_dwordx2 v[46:47], v[0:1], off
	global_load_dwordx2 v[48:49], v67, s[8:9] offset:1936
	v_mov_b32_e32 v50, s2
	v_add_co_u32_e32 v0, vcc, s3, v0
	v_addc_co_u32_e32 v1, vcc, v1, v50, vcc
	global_load_dwordx2 v[50:51], v[0:1], off
	global_load_dwordx2 v[53:54], v67, s[8:9] offset:2112
	s_waitcnt vmcnt(21)
	v_mul_f32_e32 v0, v9, v17
	v_mul_f32_e32 v1, v8, v17
	v_fmac_f32_e32 v0, v8, v16
	v_fma_f32 v1, v9, v16, -v1
	v_lshl_add_u32 v8, v68, 3, v70
	ds_write_b64 v8, v[0:1]
	s_waitcnt vmcnt(20)
	v_mul_f32_e32 v0, v11, v19
	v_mul_f32_e32 v1, v10, v19
	s_waitcnt vmcnt(19)
	v_mul_f32_e32 v8, v13, v21
	v_mul_f32_e32 v9, v12, v21
	v_fmac_f32_e32 v0, v10, v18
	v_add_u32_e32 v16, v70, v67
	v_fma_f32 v1, v11, v18, -v1
	v_fmac_f32_e32 v8, v12, v20
	v_fma_f32 v9, v13, v20, -v9
	ds_write2_b64 v16, v[0:1], v[8:9] offset0:22 offset1:44
	s_waitcnt vmcnt(18)
	v_mul_f32_e32 v0, v15, v23
	v_mul_f32_e32 v1, v14, v23
	v_fmac_f32_e32 v0, v14, v22
	v_fma_f32 v1, v15, v22, -v1
	s_waitcnt vmcnt(13)
	v_mul_f32_e32 v8, v3, v27
	v_fmac_f32_e32 v8, v2, v26
	v_mul_f32_e32 v2, v2, v27
	v_fma_f32 v9, v3, v26, -v2
	ds_write2_b64 v16, v[0:1], v[8:9] offset0:66 offset1:88
	s_waitcnt vmcnt(12)
	v_mul_f32_e32 v0, v5, v29
	v_mul_f32_e32 v1, v4, v29
	s_waitcnt vmcnt(11)
	v_mul_f32_e32 v2, v7, v31
	v_mul_f32_e32 v3, v6, v31
	v_fmac_f32_e32 v0, v4, v28
	v_fma_f32 v1, v5, v28, -v1
	v_fmac_f32_e32 v2, v6, v30
	v_fma_f32 v3, v7, v30, -v3
	ds_write2_b64 v16, v[0:1], v[2:3] offset0:110 offset1:132
	s_waitcnt vmcnt(10)
	v_mul_f32_e32 v0, v25, v33
	v_mul_f32_e32 v1, v24, v33
	s_waitcnt vmcnt(7)
	v_mul_f32_e32 v2, v35, v39
	v_mul_f32_e32 v3, v34, v39
	v_fmac_f32_e32 v0, v24, v32
	v_fma_f32 v1, v25, v32, -v1
	v_fmac_f32_e32 v2, v34, v38
	;; [unrolled: 11-line block ×4, first 2 shown]
	v_fma_f32 v3, v51, v53, -v3
	v_add_u32_e32 v4, 0x400, v16
	ds_write2_b64 v4, v[0:1], v[2:3] offset0:114 offset1:136
.LBB0_3:
	s_or_b64 exec, exec, s[6:7]
	s_load_dwordx2 s[2:3], s[4:5], 0x20
	s_load_dwordx2 s[12:13], s[4:5], 0x8
	v_mov_b32_e32 v0, 0
	v_mov_b32_e32 v1, 0
	s_waitcnt lgkmcnt(0)
	; wave barrier
	s_waitcnt lgkmcnt(0)
                                        ; implicit-def: $vgpr6
                                        ; implicit-def: $vgpr10
                                        ; implicit-def: $vgpr26
                                        ; implicit-def: $vgpr20
                                        ; implicit-def: $vgpr18
                                        ; implicit-def: $vgpr14
	s_and_saveexec_b64 s[4:5], s[0:1]
	s_cbranch_execz .LBB0_5
; %bb.4:
	v_lshl_add_u32 v20, v69, 3, v67
	ds_read2_b64 v[0:3], v20 offset1:22
	ds_read2_b64 v[12:15], v20 offset0:44 offset1:66
	ds_read2_b64 v[16:19], v20 offset0:88 offset1:110
	;; [unrolled: 1-line block ×5, first 2 shown]
	ds_read_b64 v[20:21], v20 offset:2112
.LBB0_5:
	s_or_b64 exec, exec, s[4:5]
	s_waitcnt lgkmcnt(0)
	v_sub_f32_e32 v57, v3, v21
	v_mul_f32_e32 v38, 0xbeedf032, v57
	v_sub_f32_e32 v59, v13, v27
	v_add_f32_e32 v28, v20, v2
	v_sub_f32_e32 v51, v2, v20
	v_mov_b32_e32 v22, v38
	v_mul_f32_e32 v41, 0xbf52af12, v59
	v_add_f32_e32 v29, v21, v3
	s_mov_b32 s6, 0x3f62ad3f
	v_mul_f32_e32 v40, 0xbeedf032, v51
	v_fmac_f32_e32 v22, 0x3f62ad3f, v28
	v_add_f32_e32 v30, v26, v12
	v_sub_f32_e32 v55, v12, v26
	v_mov_b32_e32 v32, v41
	v_add_f32_e32 v22, v22, v0
	v_fma_f32 v23, v29, s6, -v40
	s_mov_b32 s7, 0x3f116cb1
	v_add_f32_e32 v31, v27, v13
	v_mul_f32_e32 v43, 0xbf52af12, v55
	v_fmac_f32_e32 v32, 0x3f116cb1, v30
	v_sub_f32_e32 v64, v15, v25
	v_add_f32_e32 v23, v23, v1
	v_add_f32_e32 v22, v32, v22
	v_fma_f32 v32, v31, s7, -v43
	v_mul_f32_e32 v44, 0xbf7e222b, v64
	v_add_f32_e32 v23, v32, v23
	v_add_f32_e32 v32, v24, v14
	v_sub_f32_e32 v58, v14, v24
	v_mov_b32_e32 v34, v44
	v_add_f32_e32 v33, v25, v15
	s_mov_b32 s15, 0x3df6dbef
	v_mul_f32_e32 v45, 0xbf7e222b, v58
	v_fmac_f32_e32 v34, 0x3df6dbef, v32
	v_sub_f32_e32 v77, v17, v11
	v_add_f32_e32 v22, v34, v22
	v_fma_f32 v34, v33, s15, -v45
	v_mul_f32_e32 v46, 0xbf6f5d39, v77
	v_add_f32_e32 v23, v34, v23
	v_add_f32_e32 v34, v10, v16
	v_sub_f32_e32 v62, v16, v10
	v_mov_b32_e32 v35, v46
	s_mov_b32 s14, 0xbeb58ec6
	v_add_f32_e32 v36, v11, v17
	v_mul_f32_e32 v47, 0xbf6f5d39, v62
	v_fmac_f32_e32 v35, 0xbeb58ec6, v34
	v_sub_f32_e32 v82, v19, v9
	v_add_f32_e32 v22, v35, v22
	v_fma_f32 v35, v36, s14, -v47
	v_mul_f32_e32 v48, 0xbf29c268, v82
	v_add_f32_e32 v23, v35, v23
	v_add_f32_e32 v35, v8, v18
	v_sub_f32_e32 v66, v18, v8
	v_mov_b32_e32 v37, v48
	s_mov_b32 s17, 0xbf3f9e67
	v_add_f32_e32 v39, v9, v19
	v_mul_f32_e32 v49, 0xbf29c268, v66
	v_fmac_f32_e32 v37, 0xbf3f9e67, v35
	v_sub_f32_e32 v83, v5, v7
	v_add_f32_e32 v22, v37, v22
	v_fma_f32 v37, v39, s17, -v49
	v_mul_f32_e32 v50, 0xbe750f2a, v83
	v_add_f32_e32 v23, v37, v23
	v_add_f32_e32 v37, v6, v4
	v_mov_b32_e32 v42, v50
	v_fmac_f32_e32 v42, 0xbf788fa5, v37
	v_sub_f32_e32 v80, v4, v6
	s_mov_b32 s16, 0xbf788fa5
	v_add_f32_e32 v53, v42, v22
	v_add_f32_e32 v42, v7, v5
	v_mul_f32_e32 v56, 0xbe750f2a, v80
	v_fma_f32 v22, v42, s16, -v56
	v_mul_f32_e32 v60, 0xbf52af12, v57
	v_add_f32_e32 v54, v22, v23
	v_mov_b32_e32 v22, v60
	v_mul_f32_e32 v61, 0xbf6f5d39, v59
	v_fmac_f32_e32 v22, 0x3f116cb1, v28
	v_mov_b32_e32 v23, v61
	v_add_f32_e32 v22, v22, v0
	v_fmac_f32_e32 v23, 0xbeb58ec6, v30
	v_mul_f32_e32 v74, 0xbf52af12, v51
	v_add_f32_e32 v22, v23, v22
	v_fma_f32 v23, v29, s7, -v74
	v_mul_f32_e32 v75, 0xbf6f5d39, v55
	v_add_f32_e32 v23, v23, v1
	v_fma_f32 v63, v31, s14, -v75
	v_add_f32_e32 v23, v63, v23
	v_mul_f32_e32 v63, 0xbe750f2a, v64
	v_mov_b32_e32 v65, v63
	v_fmac_f32_e32 v65, 0xbf788fa5, v32
	v_mul_f32_e32 v76, 0xbe750f2a, v58
	v_add_f32_e32 v22, v65, v22
	v_fma_f32 v65, v33, s16, -v76
	v_add_f32_e32 v23, v65, v23
	v_mul_f32_e32 v65, 0x3f29c268, v77
	v_mov_b32_e32 v71, v65
	v_fmac_f32_e32 v71, 0xbf3f9e67, v34
	v_mul_f32_e32 v78, 0x3f29c268, v62
	v_add_f32_e32 v22, v71, v22
	v_fma_f32 v71, v36, s17, -v78
	v_mul_f32_e32 v72, 0x3f7e222b, v82
	v_add_f32_e32 v23, v71, v23
	v_mov_b32_e32 v71, v72
	v_fmac_f32_e32 v71, 0x3df6dbef, v35
	v_mul_f32_e32 v79, 0x3f7e222b, v66
	v_add_f32_e32 v22, v71, v22
	v_fma_f32 v71, v39, s15, -v79
	v_mul_f32_e32 v73, 0x3eedf032, v83
	v_add_f32_e32 v23, v71, v23
	v_mov_b32_e32 v71, v73
	v_mul_f32_e32 v81, 0x3eedf032, v80
	v_fmac_f32_e32 v71, 0x3f62ad3f, v37
	v_fma_f32 v84, v42, s6, -v81
	v_add_f32_e32 v22, v71, v22
	v_add_f32_e32 v23, v84, v23
	v_mul_lo_u16_e32 v71, 13, v68
	s_waitcnt lgkmcnt(0)
	; wave barrier
	s_and_saveexec_b64 s[4:5], s[0:1]
	s_cbranch_execz .LBB0_7
; %bb.6:
	v_mul_f32_e32 v94, 0x3df6dbef, v29
	v_mov_b32_e32 v84, v94
	v_mul_f32_e32 v95, 0xbf788fa5, v31
	v_fmac_f32_e32 v84, 0x3f7e222b, v51
	v_mov_b32_e32 v85, v95
	v_add_f32_e32 v84, v84, v1
	v_fmac_f32_e32 v85, 0x3e750f2a, v55
	v_mul_f32_e32 v96, 0xbeb58ec6, v33
	v_add_f32_e32 v84, v85, v84
	v_mov_b32_e32 v85, v96
	v_fmac_f32_e32 v85, 0xbf6f5d39, v58
	v_mul_f32_e32 v97, 0x3f62ad3f, v36
	v_add_f32_e32 v84, v85, v84
	v_mov_b32_e32 v85, v97
	v_fmac_f32_e32 v85, 0xbeedf032, v62
	v_mul_f32_e32 v98, 0x3f116cb1, v39
	v_add_f32_e32 v84, v85, v84
	v_mov_b32_e32 v85, v98
	v_fmac_f32_e32 v85, 0x3f52af12, v66
	v_mul_f32_e32 v99, 0xbf3f9e67, v42
	v_add_f32_e32 v84, v85, v84
	v_mov_b32_e32 v85, v99
	v_fmac_f32_e32 v85, 0x3f29c268, v80
	v_mul_f32_e32 v100, 0xbf7e222b, v57
	v_add_f32_e32 v85, v85, v84
	v_mov_b32_e32 v84, v100
	v_mul_f32_e32 v101, 0xbe750f2a, v59
	v_fmac_f32_e32 v84, 0x3df6dbef, v28
	v_mov_b32_e32 v86, v101
	v_add_f32_e32 v84, v84, v0
	v_fmac_f32_e32 v86, 0xbf788fa5, v30
	v_mul_f32_e32 v102, 0x3f6f5d39, v64
	v_add_f32_e32 v84, v86, v84
	v_mov_b32_e32 v86, v102
	v_fmac_f32_e32 v86, 0xbeb58ec6, v32
	v_mul_f32_e32 v103, 0x3eedf032, v77
	v_add_f32_e32 v84, v86, v84
	v_mov_b32_e32 v86, v103
	v_fmac_f32_e32 v86, 0x3f62ad3f, v34
	v_mul_f32_e32 v104, 0xbf52af12, v82
	v_add_f32_e32 v84, v86, v84
	v_mov_b32_e32 v86, v104
	v_fmac_f32_e32 v86, 0x3f116cb1, v35
	v_mul_f32_e32 v105, 0xbf29c268, v83
	v_add_f32_e32 v84, v86, v84
	v_mov_b32_e32 v86, v105
	v_fmac_f32_e32 v86, 0xbf3f9e67, v37
	v_mul_f32_e32 v90, 0xbf3f9e67, v29
	v_add_f32_e32 v84, v86, v84
	;; [unrolled: 24-line block ×3, first 2 shown]
	v_mov_b32_e32 v86, v108
	v_mul_f32_e32 v109, 0x3f7e222b, v59
	v_fmac_f32_e32 v86, 0xbf3f9e67, v28
	v_mov_b32_e32 v88, v109
	v_fmac_f32_e32 v90, 0xbf29c268, v51
	v_add_f32_e32 v86, v86, v0
	v_fmac_f32_e32 v88, 0x3df6dbef, v30
	v_mul_f32_e32 v110, 0xbf52af12, v64
	v_add_f32_e32 v90, v90, v1
	v_fmac_f32_e32 v91, 0x3f7e222b, v55
	v_add_f32_e32 v86, v88, v86
	v_mov_b32_e32 v88, v110
	v_add_f32_e32 v90, v91, v90
	v_fmac_f32_e32 v92, 0xbf52af12, v58
	v_fmac_f32_e32 v88, 0x3f116cb1, v32
	v_mul_f32_e32 v111, 0x3e750f2a, v77
	v_add_f32_e32 v90, v92, v90
	v_fmac_f32_e32 v93, 0x3e750f2a, v62
	v_add_f32_e32 v86, v88, v86
	v_mov_b32_e32 v88, v111
	v_add_f32_e32 v90, v93, v90
	v_fmac_f32_e32 v106, 0x3eedf032, v66
	v_fmac_f32_e32 v88, 0xbf788fa5, v34
	v_mul_f32_e32 v112, 0x3eedf032, v82
	v_add_f32_e32 v90, v106, v90
	v_fmac_f32_e32 v107, 0xbf6f5d39, v80
	v_add_f32_e32 v86, v88, v86
	v_mov_b32_e32 v88, v112
	v_add_f32_e32 v91, v107, v90
	v_fma_f32 v90, v28, s17, -v108
	v_fmac_f32_e32 v88, 0x3f62ad3f, v35
	v_mul_f32_e32 v113, 0xbf6f5d39, v83
	v_add_f32_e32 v90, v90, v0
	v_fma_f32 v92, v30, s15, -v109
	v_add_f32_e32 v86, v88, v86
	v_mov_b32_e32 v88, v113
	v_add_f32_e32 v90, v92, v90
	v_fma_f32 v92, v32, s7, -v110
	v_fmac_f32_e32 v88, 0xbeb58ec6, v37
	v_mul_f32_e32 v114, 0xbe750f2a, v51
	v_add_f32_e32 v90, v92, v90
	v_fma_f32 v92, v34, s16, -v111
	v_add_f32_e32 v86, v88, v86
	v_mov_b32_e32 v88, v114
	v_mul_f32_e32 v115, 0x3eedf032, v55
	v_add_f32_e32 v90, v92, v90
	v_fma_f32 v92, v35, s6, -v112
	v_fmac_f32_e32 v88, 0xbf788fa5, v29
	v_mov_b32_e32 v89, v115
	v_add_f32_e32 v90, v92, v90
	v_fma_f32 v92, v37, s14, -v113
	v_mul_f32_e32 v106, 0xbf6f5d39, v51
	v_add_f32_e32 v88, v88, v1
	v_fmac_f32_e32 v89, 0x3f62ad3f, v31
	v_mul_f32_e32 v116, 0xbf29c268, v58
	v_add_f32_e32 v90, v92, v90
	v_mov_b32_e32 v92, v106
	v_mul_f32_e32 v107, 0x3f29c268, v55
	v_add_f32_e32 v88, v89, v88
	v_mov_b32_e32 v89, v116
	v_fmac_f32_e32 v92, 0xbeb58ec6, v29
	v_mov_b32_e32 v93, v107
	v_fmac_f32_e32 v89, 0xbf3f9e67, v33
	v_mul_f32_e32 v117, 0x3f52af12, v62
	v_add_f32_e32 v92, v92, v1
	v_fmac_f32_e32 v93, 0xbf3f9e67, v31
	v_mul_f32_e32 v108, 0x3eedf032, v58
	v_add_f32_e32 v88, v89, v88
	v_mov_b32_e32 v89, v117
	v_add_f32_e32 v92, v93, v92
	v_mov_b32_e32 v93, v108
	v_fmac_f32_e32 v89, 0x3f116cb1, v36
	v_mul_f32_e32 v118, 0xbf6f5d39, v66
	v_fmac_f32_e32 v93, 0x3f62ad3f, v33
	v_mul_f32_e32 v109, 0xbf7e222b, v62
	v_add_f32_e32 v88, v89, v88
	v_mov_b32_e32 v89, v118
	v_add_f32_e32 v92, v93, v92
	v_mov_b32_e32 v93, v109
	v_fmac_f32_e32 v89, 0xbeb58ec6, v39
	v_mul_f32_e32 v120, 0xbe750f2a, v57
	v_fmac_f32_e32 v93, 0x3df6dbef, v36
	v_mul_f32_e32 v110, 0x3e750f2a, v66
	v_add_f32_e32 v88, v89, v88
	v_fma_f32 v89, v28, s16, -v120
	v_mul_f32_e32 v121, 0x3eedf032, v59
	v_add_f32_e32 v92, v93, v92
	v_mov_b32_e32 v93, v110
	v_add_f32_e32 v89, v89, v0
	v_fma_f32 v122, v30, s6, -v121
	v_fmac_f32_e32 v93, 0xbf788fa5, v39
	v_mul_f32_e32 v111, 0x3f52af12, v80
	v_add_f32_e32 v89, v122, v89
	v_mul_f32_e32 v122, 0xbf29c268, v64
	v_add_f32_e32 v92, v93, v92
	v_mov_b32_e32 v93, v111
	v_mul_f32_e32 v112, 0xbf6f5d39, v57
	v_fma_f32 v123, v32, s17, -v122
	v_fmac_f32_e32 v93, 0x3f116cb1, v42
	v_fma_f32 v57, v28, s14, -v112
	v_mul_f32_e32 v59, 0x3f29c268, v59
	v_add_f32_e32 v89, v123, v89
	v_mul_f32_e32 v123, 0x3f52af12, v77
	v_add_f32_e32 v93, v93, v92
	v_add_f32_e32 v57, v57, v0
	v_fma_f32 v92, v30, s17, -v59
	v_mul_f32_e32 v64, 0x3eedf032, v64
	v_fma_f32 v124, v34, s7, -v123
	v_add_f32_e32 v57, v92, v57
	v_fma_f32 v92, v32, s6, -v64
	v_mul_f32_e32 v77, 0xbf7e222b, v77
	v_add_f32_e32 v89, v124, v89
	v_mul_f32_e32 v124, 0xbf6f5d39, v82
	v_add_f32_e32 v57, v92, v57
	v_fma_f32 v92, v34, s15, -v77
	v_mul_f32_e32 v82, 0x3e750f2a, v82
	v_mul_f32_e32 v119, 0x3f7e222b, v80
	v_fma_f32 v125, v35, s14, -v124
	v_mul_f32_e32 v126, 0x3f7e222b, v83
	v_add_f32_e32 v57, v92, v57
	v_fma_f32 v92, v35, s16, -v82
	v_mul_f32_e32 v83, 0x3f52af12, v83
	v_add_f32_e32 v125, v125, v89
	v_mov_b32_e32 v89, v119
	v_add_f32_e32 v57, v92, v57
	v_fma_f32 v92, v37, s7, -v83
	v_fmac_f32_e32 v94, 0xbf7e222b, v51
	v_add_f32_e32 v2, v2, v0
	v_fmac_f32_e32 v89, 0x3df6dbef, v42
	v_add_f32_e32 v92, v92, v57
	;; [unrolled: 2-line block ×3, first 2 shown]
	v_fmac_f32_e32 v96, 0x3f6f5d39, v58
	v_fma_f32 v58, v28, s15, -v100
	v_add_f32_e32 v3, v3, v1
	v_add_f32_e32 v2, v12, v2
	v_add_f32_e32 v89, v89, v88
	v_fma_f32 v88, v37, s15, -v126
	v_add_f32_e32 v57, v95, v57
	v_add_f32_e32 v58, v58, v0
	v_fma_f32 v100, v30, s16, -v101
	v_add_f32_e32 v3, v13, v3
	v_add_f32_e32 v2, v14, v2
	;; [unrolled: 1-line block ×3, first 2 shown]
	v_mul_f32_e32 v125, 0x3f62ad3f, v29
	v_add_f32_e32 v57, v96, v57
	v_fmac_f32_e32 v97, 0x3eedf032, v62
	v_add_f32_e32 v58, v100, v58
	v_fma_f32 v101, v32, s14, -v102
	v_add_f32_e32 v3, v15, v3
	v_add_f32_e32 v2, v16, v2
	v_mul_f32_e32 v55, 0x3f116cb1, v29
	v_mul_f32_e32 v95, 0x3f116cb1, v31
	v_add_f32_e32 v57, v97, v57
	v_fmac_f32_e32 v98, 0xbf52af12, v66
	v_add_f32_e32 v58, v101, v58
	v_fma_f32 v102, v34, s6, -v103
	v_add_f32_e32 v40, v40, v125
	v_add_f32_e32 v3, v17, v3
	;; [unrolled: 1-line block ×3, first 2 shown]
	v_mul_f32_e32 v62, 0xbeb58ec6, v31
	v_mul_f32_e32 v66, 0x3df6dbef, v33
	v_add_f32_e32 v57, v98, v57
	v_fmac_f32_e32 v99, 0xbf29c268, v80
	v_add_f32_e32 v58, v102, v58
	v_fma_f32 v103, v35, s7, -v104
	v_add_f32_e32 v55, v74, v55
	v_add_f32_e32 v40, v40, v1
	;; [unrolled: 1-line block ×5, first 2 shown]
	v_fma_f32 v4, v29, s16, -v114
	v_mul_f32_e32 v80, 0xbf788fa5, v33
	v_mul_f32_e32 v101, 0xbeb58ec6, v36
	v_add_f32_e32 v103, v103, v58
	v_add_f32_e32 v58, v99, v57
	v_fma_f32 v57, v37, s17, -v105
	v_add_f32_e32 v62, v75, v62
	v_add_f32_e32 v55, v55, v1
	;; [unrolled: 1-line block ×6, first 2 shown]
	v_fma_f32 v5, v31, s6, -v115
	v_mul_f32_e32 v104, 0xbf3f9e67, v36
	v_add_f32_e32 v57, v57, v103
	v_mul_f32_e32 v103, 0xbf3f9e67, v39
	v_add_f32_e32 v55, v62, v55
	v_add_f32_e32 v62, v76, v80
	;; [unrolled: 1-line block ×5, first 2 shown]
	v_fma_f32 v5, v33, s17, -v116
	v_mul_f32_e32 v113, 0x3f62ad3f, v28
	v_mul_f32_e32 v75, 0x3df6dbef, v39
	;; [unrolled: 1-line block ×3, first 2 shown]
	v_add_f32_e32 v55, v62, v55
	v_add_f32_e32 v62, v78, v104
	v_add_f32_e32 v40, v43, v40
	v_add_f32_e32 v43, v49, v103
	v_add_f32_e32 v4, v5, v4
	v_fma_f32 v5, v36, s7, -v117
	v_mul_f32_e32 v51, 0x3f116cb1, v28
	v_mul_f32_e32 v94, 0x3f116cb1, v30
	;; [unrolled: 1-line block ×3, first 2 shown]
	v_add_f32_e32 v55, v62, v55
	v_add_f32_e32 v62, v79, v75
	;; [unrolled: 1-line block ×4, first 2 shown]
	v_sub_f32_e32 v38, v113, v38
	v_add_f32_e32 v2, v6, v2
	v_add_f32_e32 v4, v5, v4
	v_fma_f32 v5, v39, s14, -v118
	v_fma_f32 v6, v29, s14, -v106
	v_mul_f32_e32 v96, 0xbeb58ec6, v30
	v_mul_f32_e32 v97, 0x3df6dbef, v32
	v_add_f32_e32 v55, v62, v55
	v_add_f32_e32 v62, v81, v78
	v_sub_f32_e32 v51, v51, v60
	v_add_f32_e32 v45, v43, v40
	v_add_f32_e32 v38, v38, v0
	v_sub_f32_e32 v40, v94, v41
	v_add_f32_e32 v3, v7, v3
	v_add_f32_e32 v4, v5, v4
	v_fma_f32 v5, v42, s15, -v119
	v_fmac_f32_e32 v120, 0xbf788fa5, v28
	v_add_f32_e32 v1, v6, v1
	v_fma_f32 v6, v31, s17, -v107
	v_fmac_f32_e32 v112, 0xbeb58ec6, v28
	v_mul_f32_e32 v98, 0xbf788fa5, v32
	v_mul_f32_e32 v100, 0xbeb58ec6, v34
	v_add_f32_e32 v62, v62, v55
	v_add_f32_e32 v51, v51, v0
	v_sub_f32_e32 v55, v96, v61
	v_add_f32_e32 v38, v40, v38
	v_sub_f32_e32 v40, v97, v44
	v_add_f32_e32 v3, v9, v3
	v_add_f32_e32 v2, v8, v2
	;; [unrolled: 1-line block ×4, first 2 shown]
	v_fmac_f32_e32 v121, 0x3f62ad3f, v30
	v_add_f32_e32 v1, v6, v1
	v_fma_f32 v6, v33, s6, -v108
	v_add_f32_e32 v0, v112, v0
	v_fmac_f32_e32 v59, 0xbf3f9e67, v30
	v_mul_f32_e32 v102, 0xbf3f9e67, v34
	v_mul_f32_e32 v99, 0xbf3f9e67, v35
	v_add_f32_e32 v51, v55, v51
	v_sub_f32_e32 v55, v98, v63
	v_add_f32_e32 v38, v40, v38
	v_sub_f32_e32 v40, v100, v46
	v_add_f32_e32 v3, v11, v3
	v_add_f32_e32 v2, v10, v2
	;; [unrolled: 1-line block ×3, first 2 shown]
	v_fmac_f32_e32 v122, 0xbf3f9e67, v32
	v_add_f32_e32 v1, v6, v1
	v_fma_f32 v6, v36, s15, -v109
	v_add_f32_e32 v0, v59, v0
	v_fmac_f32_e32 v64, 0x3f62ad3f, v32
	v_mul_f32_e32 v74, 0x3df6dbef, v35
	v_mul_f32_e32 v105, 0xbf788fa5, v37
	v_add_f32_e32 v51, v55, v51
	v_sub_f32_e32 v55, v102, v65
	v_add_f32_e32 v38, v40, v38
	v_sub_f32_e32 v40, v99, v48
	v_add_f32_e32 v3, v25, v3
	v_add_f32_e32 v2, v24, v2
	;; [unrolled: 1-line block ×3, first 2 shown]
	v_fmac_f32_e32 v123, 0x3f116cb1, v34
	v_add_f32_e32 v1, v6, v1
	v_fma_f32 v6, v39, s16, -v110
	v_add_f32_e32 v0, v64, v0
	v_fmac_f32_e32 v77, 0x3df6dbef, v34
	v_mul_f32_e32 v80, 0x3f62ad3f, v37
	v_add_f32_e32 v51, v55, v51
	v_sub_f32_e32 v55, v74, v72
	v_add_f32_e32 v38, v40, v38
	v_sub_f32_e32 v40, v105, v50
	v_add_f32_e32 v3, v27, v3
	v_add_f32_e32 v2, v26, v2
	;; [unrolled: 1-line block ×3, first 2 shown]
	v_fmac_f32_e32 v124, 0xbeb58ec6, v35
	v_add_f32_e32 v1, v6, v1
	v_fma_f32 v6, v42, s7, -v111
	v_add_f32_e32 v0, v77, v0
	v_fmac_f32_e32 v82, 0xbf788fa5, v35
	v_add_f32_e32 v51, v55, v51
	v_sub_f32_e32 v55, v80, v73
	v_add_f32_e32 v44, v40, v38
	v_add_f32_e32 v3, v21, v3
	;; [unrolled: 1-line block ×4, first 2 shown]
	v_fmac_f32_e32 v126, 0x3df6dbef, v37
	v_add_f32_e32 v1, v6, v1
	v_add_f32_e32 v0, v82, v0
	v_fmac_f32_e32 v83, 0x3f116cb1, v37
	v_add_lshl_u32 v6, v69, v71, 3
	v_add_f32_e32 v61, v55, v51
	v_add_f32_e32 v4, v126, v4
	v_add_f32_e32 v0, v83, v0
	ds_write2_b64 v6, v[2:3], v[44:45] offset1:1
	ds_write2_b64 v6, v[61:62], v[57:58] offset0:2 offset1:3
	ds_write2_b64 v6, v[92:93], v[90:91] offset0:4 offset1:5
	;; [unrolled: 1-line block ×5, first 2 shown]
	ds_write_b64 v6, v[53:54] offset:96
.LBB0_7:
	s_or_b64 exec, exec, s[4:5]
	v_add_co_u32_e32 v32, vcc, -13, v68
	s_load_dwordx4 s[4:7], s[2:3], 0x0
	v_addc_co_u32_e64 v33, s[2:3], 0, -1, vcc
	v_cmp_gt_u16_e64 s[2:3], 13, v68
	v_cndmask_b32_e64 v46, v32, v68, s[2:3]
	v_mul_hi_i32_i24_e32 v1, 10, v46
	v_mul_i32_i24_e32 v0, 10, v46
	v_lshlrev_b64 v[0:1], 3, v[0:1]
	v_mov_b32_e32 v2, s13
	v_add_co_u32_e32 v20, vcc, s12, v0
	v_addc_co_u32_e32 v21, vcc, v2, v1, vcc
	s_waitcnt lgkmcnt(0)
	; wave barrier
	s_waitcnt lgkmcnt(0)
	global_load_dwordx4 v[12:15], v[20:21], off
	global_load_dwordx4 v[8:11], v[20:21], off offset:16
	global_load_dwordx4 v[4:7], v[20:21], off offset:32
	;; [unrolled: 1-line block ×4, first 2 shown]
	v_add_lshl_u32 v72, v69, v68, 3
	ds_read2_b64 v[24:27], v72 offset1:26
	ds_read2_b64 v[28:31], v72 offset0:52 offset1:78
	ds_read2_b64 v[34:37], v72 offset0:104 offset1:130
	;; [unrolled: 1-line block ×4, first 2 shown]
	ds_read_b64 v[20:21], v72 offset:2080
	s_mov_b32 s14, 0x3f575c64
	s_mov_b32 s15, 0x3ed4b147
	s_mov_b32 s16, 0xbe11bafb
	s_mov_b32 s17, 0xbf27a4f4
	s_mov_b32 s18, 0xbf75a155
	v_cmp_lt_u16_e32 vcc, 12, v68
	s_waitcnt lgkmcnt(0)
	; wave barrier
	s_waitcnt vmcnt(4) lgkmcnt(0)
	v_mul_f32_e32 v47, v27, v13
	v_mul_f32_e32 v48, v26, v13
	;; [unrolled: 1-line block ×4, first 2 shown]
	s_waitcnt vmcnt(0)
	v_mul_f32_e32 v74, v21, v19
	v_mul_f32_e32 v75, v20, v19
	v_fma_f32 v26, v26, v12, -v47
	v_fmac_f32_e32 v48, v27, v12
	v_mul_f32_e32 v51, v31, v9
	v_mul_f32_e32 v55, v30, v9
	;; [unrolled: 1-line block ×6, first 2 shown]
	v_fma_f32 v28, v28, v14, -v49
	v_fmac_f32_e32 v50, v29, v14
	v_fma_f32 v20, v20, v18, -v74
	v_fmac_f32_e32 v75, v21, v18
	v_add_f32_e32 v21, v24, v26
	v_add_f32_e32 v27, v25, v48
	v_mul_f32_e32 v61, v38, v7
	v_mul_f32_e32 v63, v40, v1
	v_fma_f32 v29, v30, v8, -v51
	v_fmac_f32_e32 v55, v31, v8
	v_fma_f32 v30, v34, v10, -v56
	v_fmac_f32_e32 v57, v35, v10
	v_fma_f32 v34, v38, v6, -v60
	v_fma_f32 v35, v40, v0, -v62
	v_add_f32_e32 v38, v26, v20
	v_sub_f32_e32 v40, v26, v20
	v_add_f32_e32 v21, v21, v28
	v_add_f32_e32 v26, v27, v50
	v_mul_f32_e32 v58, v37, v5
	v_mul_f32_e32 v59, v36, v5
	v_add_f32_e32 v21, v21, v29
	v_add_f32_e32 v26, v26, v55
	v_fma_f32 v31, v36, v4, -v58
	v_fmac_f32_e32 v59, v37, v4
	v_add_f32_e32 v21, v21, v30
	v_add_f32_e32 v26, v26, v57
	v_fmac_f32_e32 v61, v39, v6
	v_add_f32_e32 v21, v21, v31
	v_add_f32_e32 v26, v26, v59
	v_mul_f32_e32 v64, v43, v3
	v_mul_f32_e32 v65, v42, v3
	v_fmac_f32_e32 v63, v41, v0
	v_sub_f32_e32 v41, v48, v75
	v_add_f32_e32 v21, v21, v34
	v_add_f32_e32 v26, v26, v61
	v_mul_f32_e32 v66, v45, v17
	v_mul_f32_e32 v73, v44, v17
	v_fma_f32 v36, v42, v2, -v64
	v_fmac_f32_e32 v65, v43, v2
	v_mul_f32_e32 v42, 0xbf0a6770, v41
	v_add_f32_e32 v21, v21, v35
	v_add_f32_e32 v26, v26, v63
	v_fma_f32 v37, v44, v16, -v66
	v_fmac_f32_e32 v73, v45, v16
	v_fma_f32 v27, v38, s14, -v42
	v_add_f32_e32 v21, v21, v36
	v_add_f32_e32 v26, v26, v65
	v_add_f32_e32 v39, v48, v75
	v_mul_f32_e32 v43, 0xbf0a6770, v40
	v_add_f32_e32 v44, v24, v27
	v_add_f32_e32 v21, v21, v37
	;; [unrolled: 1-line block ×3, first 2 shown]
	v_fmac_f32_e32 v42, 0x3f575c64, v38
	v_mul_f32_e32 v47, 0xbf68dda4, v40
	v_mul_f32_e32 v56, 0xbf7d64f0, v40
	;; [unrolled: 1-line block ×4, first 2 shown]
	v_add_f32_e32 v26, v21, v20
	v_add_f32_e32 v27, v27, v75
	v_mov_b32_e32 v20, v43
	v_add_f32_e32 v21, v24, v42
	v_fma_f32 v42, v39, s14, -v43
	v_mul_f32_e32 v43, 0xbf68dda4, v41
	v_mov_b32_e32 v48, v47
	v_mul_f32_e32 v49, 0xbf7d64f0, v41
	v_mov_b32_e32 v58, v56
	;; [unrolled: 2-line block ×4, first 2 shown]
	v_fmac_f32_e32 v20, 0x3f575c64, v39
	v_fma_f32 v45, v38, s15, -v43
	v_fmac_f32_e32 v48, 0x3ed4b147, v39
	v_fmac_f32_e32 v43, 0x3ed4b147, v38
	v_fma_f32 v47, v39, s15, -v47
	v_fma_f32 v51, v38, s16, -v49
	v_fmac_f32_e32 v58, 0xbe11bafb, v39
	v_fmac_f32_e32 v49, 0xbe11bafb, v38
	v_fma_f32 v56, v39, s16, -v56
	;; [unrolled: 4-line block ×4, first 2 shown]
	v_add_f32_e32 v20, v25, v20
	v_add_f32_e32 v42, v25, v42
	;; [unrolled: 1-line block ×11, first 2 shown]
	v_sub_f32_e32 v28, v28, v37
	v_sub_f32_e32 v37, v50, v73
	v_mul_f32_e32 v40, 0xbf68dda4, v37
	v_add_f32_e32 v45, v24, v45
	v_add_f32_e32 v43, v24, v43
	v_add_f32_e32 v51, v24, v51
	v_add_f32_e32 v49, v24, v49
	v_add_f32_e32 v62, v24, v62
	v_add_f32_e32 v60, v24, v60
	v_add_f32_e32 v74, v24, v74
	v_add_f32_e32 v24, v24, v41
	v_fma_f32 v41, v38, s15, -v40
	v_add_f32_e32 v39, v50, v73
	v_add_f32_e32 v41, v41, v44
	v_mul_f32_e32 v44, 0xbf68dda4, v28
	v_fmac_f32_e32 v40, 0x3ed4b147, v38
	v_add_f32_e32 v21, v40, v21
	v_fma_f32 v40, v39, s15, -v44
	v_add_f32_e32 v40, v40, v42
	v_mul_f32_e32 v42, 0xbf4178ce, v37
	v_mov_b32_e32 v50, v44
	v_fma_f32 v44, v38, s17, -v42
	v_fmac_f32_e32 v50, 0x3ed4b147, v39
	v_add_f32_e32 v44, v44, v45
	v_mul_f32_e32 v45, 0xbf4178ce, v28
	v_add_f32_e32 v20, v50, v20
	v_mov_b32_e32 v50, v45
	v_fmac_f32_e32 v42, 0xbf27a4f4, v38
	v_fmac_f32_e32 v50, 0xbf27a4f4, v39
	v_add_f32_e32 v42, v42, v43
	v_fma_f32 v43, v39, s17, -v45
	v_mul_f32_e32 v45, 0x3e903f40, v37
	v_add_f32_e32 v48, v50, v48
	v_add_f32_e32 v43, v43, v47
	v_fma_f32 v47, v38, s18, -v45
	v_mul_f32_e32 v50, 0x3e903f40, v28
	v_add_f32_e32 v47, v47, v51
	v_mov_b32_e32 v51, v50
	v_fmac_f32_e32 v45, 0xbf75a155, v38
	v_fmac_f32_e32 v51, 0xbf75a155, v39
	v_add_f32_e32 v45, v45, v49
	v_fma_f32 v49, v39, s18, -v50
	v_mul_f32_e32 v50, 0x3f7d64f0, v37
	v_add_f32_e32 v51, v51, v58
	v_add_f32_e32 v49, v49, v56
	v_fma_f32 v56, v38, s16, -v50
	v_mul_f32_e32 v58, 0x3f7d64f0, v28
	v_add_f32_e32 v56, v56, v62
	v_mov_b32_e32 v62, v58
	v_fma_f32 v58, v39, s16, -v58
	v_mul_f32_e32 v28, 0x3f0a6770, v28
	v_add_f32_e32 v58, v58, v64
	v_mov_b32_e32 v64, v28
	v_fma_f32 v28, v39, s14, -v28
	v_fmac_f32_e32 v50, 0xbe11bafb, v38
	v_mul_f32_e32 v37, 0x3f0a6770, v37
	v_add_f32_e32 v25, v28, v25
	v_add_f32_e32 v28, v29, v36
	v_sub_f32_e32 v29, v29, v36
	v_sub_f32_e32 v36, v55, v65
	v_add_f32_e32 v50, v50, v60
	v_fma_f32 v60, v38, s14, -v37
	v_fmac_f32_e32 v37, 0x3f575c64, v38
	v_mul_f32_e32 v38, 0xbf7d64f0, v36
	v_fmac_f32_e32 v62, 0xbe11bafb, v39
	v_fmac_f32_e32 v64, 0x3f575c64, v39
	v_fma_f32 v39, v28, s16, -v38
	v_add_f32_e32 v24, v37, v24
	v_add_f32_e32 v37, v55, v65
	;; [unrolled: 1-line block ×3, first 2 shown]
	v_mul_f32_e32 v41, 0xbf7d64f0, v29
	v_fmac_f32_e32 v38, 0xbe11bafb, v28
	v_add_f32_e32 v21, v38, v21
	v_fma_f32 v38, v37, s16, -v41
	v_add_f32_e32 v38, v38, v40
	v_mul_f32_e32 v40, 0x3e903f40, v36
	v_mov_b32_e32 v55, v41
	v_fma_f32 v41, v28, s18, -v40
	v_add_f32_e32 v41, v41, v44
	v_mul_f32_e32 v44, 0x3e903f40, v29
	v_fmac_f32_e32 v40, 0xbf75a155, v28
	v_add_f32_e32 v40, v40, v42
	v_fma_f32 v42, v37, s18, -v44
	v_fmac_f32_e32 v55, 0xbe11bafb, v37
	v_add_f32_e32 v42, v42, v43
	v_mul_f32_e32 v43, 0x3f68dda4, v36
	v_add_f32_e32 v20, v55, v20
	v_mov_b32_e32 v55, v44
	v_fma_f32 v44, v28, s15, -v43
	v_fmac_f32_e32 v55, 0xbf75a155, v37
	v_add_f32_e32 v44, v44, v47
	v_mul_f32_e32 v47, 0x3f68dda4, v29
	v_add_f32_e32 v48, v55, v48
	v_mov_b32_e32 v55, v47
	v_fmac_f32_e32 v43, 0x3ed4b147, v28
	v_fmac_f32_e32 v55, 0x3ed4b147, v37
	v_add_f32_e32 v43, v43, v45
	v_fma_f32 v45, v37, s15, -v47
	v_mul_f32_e32 v47, 0xbf0a6770, v36
	v_add_f32_e32 v51, v55, v51
	v_add_f32_e32 v45, v45, v49
	v_fma_f32 v49, v28, s14, -v47
	v_mul_f32_e32 v55, 0xbf0a6770, v29
	v_fmac_f32_e32 v47, 0x3f575c64, v28
	v_mul_f32_e32 v36, 0xbf4178ce, v36
	v_mul_f32_e32 v29, 0xbf4178ce, v29
	v_add_f32_e32 v49, v49, v56
	v_mov_b32_e32 v56, v55
	v_add_f32_e32 v47, v47, v50
	v_fma_f32 v50, v37, s14, -v55
	v_fma_f32 v55, v28, s17, -v36
	v_fmac_f32_e32 v36, 0xbf27a4f4, v28
	v_fma_f32 v28, v37, s17, -v29
	v_add_f32_e32 v25, v28, v25
	v_add_f32_e32 v28, v30, v35
	v_sub_f32_e32 v30, v30, v35
	v_sub_f32_e32 v35, v57, v63
	v_add_f32_e32 v50, v50, v58
	v_mov_b32_e32 v58, v29
	v_add_f32_e32 v24, v36, v24
	v_mul_f32_e32 v36, 0xbf4178ce, v35
	v_fmac_f32_e32 v56, 0x3f575c64, v37
	v_fmac_f32_e32 v58, 0xbf27a4f4, v37
	v_fma_f32 v37, v28, s17, -v36
	v_add_f32_e32 v29, v57, v63
	v_add_f32_e32 v37, v37, v39
	v_mul_f32_e32 v39, 0xbf4178ce, v30
	v_fmac_f32_e32 v36, 0xbf27a4f4, v28
	v_add_f32_e32 v21, v36, v21
	v_fma_f32 v36, v29, s17, -v39
	v_add_f32_e32 v36, v36, v38
	v_mul_f32_e32 v38, 0x3f7d64f0, v35
	v_mov_b32_e32 v57, v39
	v_fma_f32 v39, v28, s16, -v38
	v_fmac_f32_e32 v57, 0xbf27a4f4, v29
	v_add_f32_e32 v39, v39, v41
	v_mul_f32_e32 v41, 0x3f7d64f0, v30
	v_fmac_f32_e32 v38, 0xbe11bafb, v28
	v_add_f32_e32 v20, v57, v20
	v_mov_b32_e32 v57, v41
	v_add_f32_e32 v38, v38, v40
	v_fma_f32 v40, v29, s16, -v41
	v_mul_f32_e32 v41, 0xbf0a6770, v35
	v_add_f32_e32 v40, v40, v42
	v_fma_f32 v42, v28, s14, -v41
	v_fmac_f32_e32 v57, 0xbe11bafb, v29
	v_add_f32_e32 v42, v42, v44
	v_mul_f32_e32 v44, 0xbf0a6770, v30
	v_fmac_f32_e32 v41, 0x3f575c64, v28
	v_add_f32_e32 v48, v57, v48
	v_mov_b32_e32 v57, v44
	v_add_f32_e32 v41, v41, v43
	v_fma_f32 v43, v29, s14, -v44
	v_mul_f32_e32 v44, 0xbe903f40, v35
	v_add_f32_e32 v43, v43, v45
	v_fma_f32 v45, v28, s18, -v44
	v_add_f32_e32 v45, v45, v49
	v_mul_f32_e32 v49, 0xbe903f40, v30
	v_fmac_f32_e32 v44, 0xbf75a155, v28
	v_add_f32_e32 v62, v62, v66
	v_add_f32_e32 v60, v60, v74
	v_fmac_f32_e32 v57, 0x3f575c64, v29
	v_add_f32_e32 v44, v44, v47
	v_fma_f32 v47, v29, s18, -v49
	v_mul_f32_e32 v35, 0x3f68dda4, v35
	v_mul_f32_e32 v30, 0x3f68dda4, v30
	v_add_f32_e32 v64, v64, v75
	v_add_f32_e32 v56, v56, v62
	;; [unrolled: 1-line block ×4, first 2 shown]
	v_mov_b32_e32 v57, v49
	v_add_f32_e32 v47, v47, v50
	v_fma_f32 v49, v28, s15, -v35
	v_mov_b32_e32 v50, v30
	v_fmac_f32_e32 v35, 0x3ed4b147, v28
	v_sub_f32_e32 v62, v31, v34
	v_add_f32_e32 v58, v58, v64
	v_fmac_f32_e32 v57, 0xbf75a155, v29
	v_add_f32_e32 v49, v49, v55
	v_fmac_f32_e32 v50, 0x3ed4b147, v29
	v_add_f32_e32 v55, v35, v24
	v_fma_f32 v24, v29, s15, -v30
	v_add_f32_e32 v60, v59, v61
	v_sub_f32_e32 v59, v59, v61
	v_mul_f32_e32 v29, 0xbe903f40, v62
	v_add_f32_e32 v56, v57, v56
	v_add_f32_e32 v50, v50, v58
	;; [unrolled: 1-line block ×4, first 2 shown]
	v_mul_f32_e32 v28, 0xbe903f40, v59
	v_mov_b32_e32 v25, v29
	v_fma_f32 v24, v58, s18, -v28
	v_fmac_f32_e32 v25, 0xbf75a155, v60
	v_fmac_f32_e32 v28, 0xbf75a155, v58
	v_add_f32_e32 v25, v25, v20
	v_add_f32_e32 v20, v28, v21
	v_fma_f32 v21, v60, s18, -v29
	v_add_f32_e32 v21, v21, v36
	v_mul_f32_e32 v31, 0x3f0a6770, v62
	v_mul_f32_e32 v36, 0xbf4178ce, v59
	;; [unrolled: 1-line block ×3, first 2 shown]
	v_mov_b32_e32 v29, v31
	v_fma_f32 v31, v60, s14, -v31
	v_fma_f32 v34, v58, s17, -v36
	v_fmac_f32_e32 v36, 0xbf27a4f4, v58
	v_fma_f32 v28, v58, s14, -v30
	v_fmac_f32_e32 v30, 0x3f575c64, v58
	v_add_f32_e32 v31, v31, v40
	v_add_f32_e32 v36, v36, v41
	v_mul_f32_e32 v40, 0x3f68dda4, v59
	v_mul_f32_e32 v41, 0x3f68dda4, v62
	v_add_f32_e32 v24, v24, v37
	v_add_f32_e32 v28, v28, v39
	;; [unrolled: 1-line block ×3, first 2 shown]
	v_mul_f32_e32 v37, 0xbf4178ce, v62
	v_fma_f32 v38, v58, s15, -v40
	v_mov_b32_e32 v39, v41
	v_fma_f32 v41, v60, s15, -v41
	v_mov_b32_e32 v35, v37
	v_fma_f32 v37, v60, s17, -v37
	v_add_f32_e32 v38, v38, v45
	v_fmac_f32_e32 v40, 0x3ed4b147, v58
	v_add_f32_e32 v41, v41, v47
	v_mul_f32_e32 v45, 0xbf7d64f0, v62
	v_mov_b32_e32 v47, 0x8f
	v_add_f32_e32 v37, v37, v43
	v_add_f32_e32 v40, v40, v44
	v_mul_f32_e32 v44, 0xbf7d64f0, v59
	v_mov_b32_e32 v43, v45
	v_cndmask_b32_e32 v47, 0, v47, vcc
	v_fmac_f32_e32 v29, 0x3f575c64, v60
	v_add_f32_e32 v34, v34, v42
	v_fma_f32 v42, v58, s16, -v44
	v_fmac_f32_e32 v43, 0xbe11bafb, v60
	v_fmac_f32_e32 v44, 0xbe11bafb, v58
	v_fma_f32 v45, v60, s16, -v45
	v_add_u32_e32 v46, v46, v47
	v_add_f32_e32 v29, v29, v48
	v_fmac_f32_e32 v35, 0xbf27a4f4, v60
	v_fmac_f32_e32 v39, 0x3ed4b147, v60
	v_add_f32_e32 v42, v42, v49
	v_add_f32_e32 v43, v43, v50
	;; [unrolled: 1-line block ×4, first 2 shown]
	v_add_lshl_u32 v74, v69, v46, 3
	v_add_f32_e32 v35, v35, v51
	v_add_f32_e32 v39, v39, v56
	ds_write2_b64 v74, v[26:27], v[24:25] offset1:13
	ds_write2_b64 v74, v[28:29], v[34:35] offset0:26 offset1:39
	ds_write2_b64 v74, v[38:39], v[42:43] offset0:52 offset1:65
	;; [unrolled: 1-line block ×4, first 2 shown]
	ds_write_b64 v74, v[20:21] offset:1040
	s_waitcnt lgkmcnt(0)
	; wave barrier
	s_waitcnt lgkmcnt(0)
	ds_read2_b64 v[44:47], v72 offset1:26
	ds_read2_b64 v[40:43], v72 offset0:104 offset1:143
	ds_read2_b64 v[24:27], v72 offset0:169 offset1:195
	;; [unrolled: 1-line block ×4, first 2 shown]
	s_and_saveexec_b64 s[14:15], s[2:3]
	s_cbranch_execz .LBB0_9
; %bb.8:
	v_add_u32_e32 v20, 0x400, v72
	ds_read2_b64 v[20:23], v20 offset0:2 offset1:145
	v_add_co_u32_e32 v32, vcc, 0x82, v68
	v_addc_co_u32_e64 v33, s[16:17], 0, 0, vcc
.LBB0_9:
	s_or_b64 exec, exec, s[14:15]
	v_lshlrev_b64 v[32:33], 3, v[32:33]
	global_load_dwordx2 v[57:58], v67, s[12:13] offset:1040
	global_load_dwordx2 v[59:60], v67, s[12:13] offset:1248
	;; [unrolled: 1-line block ×5, first 2 shown]
	v_mov_b32_e32 v34, s13
	v_add_co_u32_e32 v32, vcc, s12, v32
	v_addc_co_u32_e32 v33, vcc, v34, v33, vcc
	global_load_dwordx2 v[55:56], v[32:33], off offset:1040
	v_lshl_add_u32 v73, v68, 3, v70
	v_add_u32_e32 v75, v67, v70
	s_waitcnt vmcnt(5) lgkmcnt(3)
	v_mul_f32_e32 v33, v42, v58
	s_waitcnt vmcnt(4) lgkmcnt(2)
	v_mul_f32_e32 v34, v25, v60
	v_mul_f32_e32 v35, v24, v60
	s_waitcnt vmcnt(2) lgkmcnt(0)
	v_mul_f32_e32 v39, v28, v64
	s_waitcnt vmcnt(1)
	v_mul_f32_e32 v77, v30, v66
	v_mul_f32_e32 v76, v31, v66
	v_fmac_f32_e32 v77, v31, v65
	v_mul_f32_e32 v32, v43, v58
	v_mul_f32_e32 v36, v27, v62
	;; [unrolled: 1-line block ×4, first 2 shown]
	v_fmac_f32_e32 v33, v43, v57
	v_fma_f32 v24, v24, v59, -v34
	v_fmac_f32_e32 v35, v25, v59
	v_fmac_f32_e32 v39, v29, v63
	v_fma_f32 v29, v30, v65, -v76
	v_sub_f32_e32 v43, v41, v77
	s_waitcnt vmcnt(0)
	v_mul_f32_e32 v76, v23, v56
	v_mul_f32_e32 v77, v22, v56
	v_fma_f32 v32, v42, v57, -v32
	v_fma_f32 v25, v26, v61, -v36
	v_fmac_f32_e32 v37, v27, v61
	v_fma_f32 v28, v28, v63, -v38
	v_sub_f32_e32 v30, v46, v24
	v_sub_f32_e32 v31, v47, v35
	v_fma_f32 v22, v22, v55, -v76
	v_fmac_f32_e32 v77, v23, v55
	v_sub_f32_e32 v26, v44, v32
	v_sub_f32_e32 v27, v45, v33
	;; [unrolled: 1-line block ×7, first 2 shown]
	v_fma_f32 v28, v46, 2.0, -v30
	v_fma_f32 v29, v47, 2.0, -v31
	v_sub_f32_e32 v46, v20, v22
	v_sub_f32_e32 v47, v21, v77
	v_fma_f32 v24, v44, 2.0, -v26
	v_fma_f32 v25, v45, 2.0, -v27
	;; [unrolled: 1-line block ×10, first 2 shown]
	ds_write2_b64 v73, v[30:31], v[34:35] offset0:169 offset1:195
	ds_write_b64 v73, v[38:39] offset:1768
	ds_write2_b64 v73, v[24:25], v[28:29] offset1:26
	ds_write2_b64 v73, v[32:33], v[36:37] offset0:52 offset1:78
	ds_write2_b64 v73, v[40:41], v[26:27] offset0:104 offset1:143
	ds_write_b64 v75, v[42:43] offset:1976
	s_and_saveexec_b64 s[12:13], s[2:3]
	s_cbranch_execz .LBB0_11
; %bb.10:
	v_add_u32_e32 v20, 0x400, v73
	ds_write2_b64 v20, v[44:45], v[46:47] offset0:2 offset1:145
.LBB0_11:
	s_or_b64 exec, exec, s[12:13]
	s_waitcnt lgkmcnt(0)
	; wave barrier
	s_waitcnt lgkmcnt(0)
	s_and_saveexec_b64 s[12:13], s[0:1]
	s_cbranch_execz .LBB0_13
; %bb.12:
	global_load_dwordx2 v[48:49], v67, s[8:9] offset:2288
	ds_read2_b64 v[20:23], v73 offset1:22
	s_add_u32 s14, s8, 0x8f0
	s_addc_u32 s15, s9, 0
	s_waitcnt vmcnt(0) lgkmcnt(0)
	v_mul_f32_e32 v50, v21, v49
	v_mul_f32_e32 v51, v20, v49
	v_fma_f32 v50, v20, v48, -v50
	v_fmac_f32_e32 v51, v21, v48
	global_load_dwordx2 v[20:21], v67, s[14:15] offset:176
	s_waitcnt vmcnt(0)
	v_mul_f32_e32 v48, v23, v21
	v_mul_f32_e32 v49, v22, v21
	v_fma_f32 v48, v22, v20, -v48
	v_fmac_f32_e32 v49, v23, v20
	ds_write2_b64 v73, v[50:51], v[48:49] offset1:22
	global_load_dwordx2 v[48:49], v67, s[14:15] offset:352
	ds_read2_b64 v[20:23], v73 offset0:44 offset1:66
	s_waitcnt vmcnt(0) lgkmcnt(0)
	v_mul_f32_e32 v50, v21, v49
	v_mul_f32_e32 v51, v20, v49
	v_fma_f32 v50, v20, v48, -v50
	v_fmac_f32_e32 v51, v21, v48
	global_load_dwordx2 v[20:21], v67, s[14:15] offset:528
	s_waitcnt vmcnt(0)
	v_mul_f32_e32 v48, v23, v21
	v_mul_f32_e32 v49, v22, v21
	v_fma_f32 v48, v22, v20, -v48
	v_fmac_f32_e32 v49, v23, v20
	ds_write2_b64 v73, v[50:51], v[48:49] offset0:44 offset1:66
	global_load_dwordx2 v[48:49], v67, s[14:15] offset:704
	ds_read2_b64 v[20:23], v73 offset0:88 offset1:110
	s_waitcnt vmcnt(0) lgkmcnt(0)
	v_mul_f32_e32 v50, v21, v49
	v_mul_f32_e32 v51, v20, v49
	v_fma_f32 v50, v20, v48, -v50
	v_fmac_f32_e32 v51, v21, v48
	global_load_dwordx2 v[20:21], v67, s[14:15] offset:880
	s_waitcnt vmcnt(0)
	v_mul_f32_e32 v48, v23, v21
	v_mul_f32_e32 v49, v22, v21
	v_fma_f32 v48, v22, v20, -v48
	v_fmac_f32_e32 v49, v23, v20
	ds_write2_b64 v73, v[50:51], v[48:49] offset0:88 offset1:110
	;; [unrolled: 14-line block ×4, first 2 shown]
	global_load_dwordx2 v[48:49], v67, s[14:15] offset:1760
	ds_read2_b64 v[20:23], v73 offset0:220 offset1:242
	s_waitcnt vmcnt(0) lgkmcnt(0)
	v_mul_f32_e32 v50, v21, v49
	v_mul_f32_e32 v51, v20, v49
	v_fma_f32 v50, v20, v48, -v50
	v_fmac_f32_e32 v51, v21, v48
	global_load_dwordx2 v[20:21], v67, s[14:15] offset:1936
	s_waitcnt vmcnt(0)
	v_mul_f32_e32 v48, v23, v21
	v_mul_f32_e32 v49, v22, v21
	v_fma_f32 v48, v22, v20, -v48
	v_fmac_f32_e32 v49, v23, v20
	global_load_dwordx2 v[22:23], v67, s[14:15] offset:2112
	ds_read_b64 v[20:21], v73 offset:2112
	ds_write2_b64 v73, v[50:51], v[48:49] offset0:220 offset1:242
	s_waitcnt vmcnt(0) lgkmcnt(1)
	v_mul_f32_e32 v48, v21, v23
	v_mul_f32_e32 v49, v20, v23
	v_fma_f32 v48, v20, v22, -v48
	v_fmac_f32_e32 v49, v21, v22
	ds_write_b64 v73, v[48:49] offset:2112
.LBB0_13:
	s_or_b64 exec, exec, s[12:13]
	s_waitcnt lgkmcnt(0)
	; wave barrier
	s_waitcnt lgkmcnt(0)
	s_and_saveexec_b64 s[12:13], s[0:1]
	s_cbranch_execz .LBB0_15
; %bb.14:
	ds_read2_b64 v[24:27], v73 offset1:22
	ds_read2_b64 v[28:31], v73 offset0:44 offset1:66
	ds_read2_b64 v[32:35], v73 offset0:88 offset1:110
	;; [unrolled: 1-line block ×5, first 2 shown]
	ds_read_b64 v[53:54], v73 offset:2112
.LBB0_15:
	s_or_b64 exec, exec, s[12:13]
	s_waitcnt lgkmcnt(0)
	v_sub_f32_e32 v82, v27, v54
	v_add_f32_e32 v22, v53, v26
	v_add_f32_e32 v85, v54, v27
	s_mov_b32 s14, 0x3f116cb1
	v_mul_f32_e32 v89, 0xbf52af12, v82
	v_sub_f32_e32 v83, v29, v47
	v_mul_f32_e32 v94, 0x3f116cb1, v85
	v_fma_f32 v20, v22, s14, -v89
	v_add_f32_e32 v23, v46, v28
	v_add_f32_e32 v87, v47, v29
	s_mov_b32 s15, 0xbeb58ec6
	v_mul_f32_e32 v93, 0xbf6f5d39, v83
	v_sub_f32_e32 v48, v26, v53
	v_add_f32_e32 v20, v24, v20
	v_mov_b32_e32 v21, v94
	v_mul_f32_e32 v97, 0xbeb58ec6, v87
	v_fma_f32 v49, v23, s15, -v93
	v_fmac_f32_e32 v21, 0xbf52af12, v48
	v_sub_f32_e32 v50, v28, v46
	v_add_f32_e32 v20, v49, v20
	v_mov_b32_e32 v49, v97
	v_add_f32_e32 v21, v25, v21
	v_fmac_f32_e32 v49, 0xbf6f5d39, v50
	v_sub_f32_e32 v84, v31, v45
	v_add_f32_e32 v21, v49, v21
	v_add_f32_e32 v49, v44, v30
	v_add_f32_e32 v90, v45, v31
	s_mov_b32 s16, 0xbf788fa5
	v_mul_f32_e32 v96, 0xbe750f2a, v84
	v_mul_f32_e32 v100, 0xbf788fa5, v90
	v_fma_f32 v51, v49, s16, -v96
	v_sub_f32_e32 v76, v30, v44
	v_add_f32_e32 v20, v51, v20
	v_mov_b32_e32 v51, v100
	v_fmac_f32_e32 v51, 0xbe750f2a, v76
	v_sub_f32_e32 v86, v33, v43
	v_add_f32_e32 v21, v51, v21
	v_add_f32_e32 v51, v42, v32
	v_add_f32_e32 v92, v43, v33
	s_mov_b32 s17, 0xbf3f9e67
	v_mul_f32_e32 v99, 0x3f29c268, v86
	v_mul_f32_e32 v102, 0xbf3f9e67, v92
	v_fma_f32 v77, v51, s17, -v99
	v_sub_f32_e32 v78, v32, v42
	v_add_f32_e32 v20, v77, v20
	v_mov_b32_e32 v77, v102
	v_fmac_f32_e32 v77, 0x3f29c268, v78
	v_sub_f32_e32 v88, v35, v41
	v_add_f32_e32 v21, v77, v21
	v_add_f32_e32 v77, v40, v34
	v_add_f32_e32 v95, v41, v35
	s_mov_b32 s18, 0x3df6dbef
	v_mul_f32_e32 v101, 0x3f7e222b, v88
	v_mul_f32_e32 v104, 0x3df6dbef, v95
	v_fma_f32 v79, v77, s18, -v101
	v_sub_f32_e32 v80, v34, v40
	v_add_f32_e32 v20, v79, v20
	v_mov_b32_e32 v79, v104
	v_fmac_f32_e32 v79, 0x3f7e222b, v80
	v_sub_f32_e32 v91, v37, v39
	v_add_f32_e32 v21, v79, v21
	v_add_f32_e32 v79, v38, v36
	v_add_f32_e32 v98, v39, v37
	s_mov_b32 s19, 0x3f62ad3f
	v_mul_f32_e32 v103, 0x3eedf032, v91
	v_mul_f32_e32 v105, 0x3f62ad3f, v98
	v_fma_f32 v106, v79, s19, -v103
	v_sub_f32_e32 v81, v36, v38
	v_add_f32_e32 v20, v106, v20
	v_mov_b32_e32 v106, v105
	v_fmac_f32_e32 v106, 0x3eedf032, v81
	v_add_f32_e32 v21, v106, v21
	s_waitcnt lgkmcnt(0)
	; wave barrier
	s_and_saveexec_b64 s[12:13], s[0:1]
	s_cbranch_execz .LBB0_17
; %bb.16:
	v_mul_f32_e32 v116, 0xbf7e222b, v48
	v_mov_b32_e32 v106, v116
	v_mul_f32_e32 v117, 0xbe750f2a, v50
	v_fmac_f32_e32 v106, 0x3df6dbef, v85
	v_mov_b32_e32 v107, v117
	v_add_f32_e32 v106, v25, v106
	v_fmac_f32_e32 v107, 0xbf788fa5, v87
	v_mul_f32_e32 v119, 0x3f6f5d39, v76
	v_add_f32_e32 v106, v107, v106
	v_mov_b32_e32 v107, v119
	v_fmac_f32_e32 v107, 0xbeb58ec6, v90
	v_mul_f32_e32 v120, 0x3eedf032, v78
	v_add_f32_e32 v106, v107, v106
	v_mov_b32_e32 v107, v120
	;; [unrolled: 4-line block ×4, first 2 shown]
	v_fmac_f32_e32 v107, 0xbf3f9e67, v98
	v_mul_f32_e32 v123, 0xbf7e222b, v82
	v_add_f32_e32 v107, v107, v106
	v_fma_f32 v106, v22, s18, -v123
	v_mul_f32_e32 v124, 0xbe750f2a, v83
	v_add_f32_e32 v106, v24, v106
	v_fma_f32 v108, v23, s16, -v124
	;; [unrolled: 3-line block ×6, first 2 shown]
	v_mul_f32_e32 v112, 0xbf29c268, v48
	v_add_f32_e32 v106, v108, v106
	v_mov_b32_e32 v108, v112
	v_mul_f32_e32 v113, 0x3f7e222b, v50
	v_fmac_f32_e32 v108, 0xbf3f9e67, v85
	v_mov_b32_e32 v109, v113
	v_add_f32_e32 v108, v25, v108
	v_fmac_f32_e32 v109, 0x3df6dbef, v87
	v_mul_f32_e32 v114, 0xbf52af12, v76
	v_add_f32_e32 v108, v109, v108
	v_mov_b32_e32 v109, v114
	v_fmac_f32_e32 v109, 0x3f116cb1, v90
	v_mul_f32_e32 v115, 0x3e750f2a, v78
	v_add_f32_e32 v108, v109, v108
	v_mov_b32_e32 v109, v115
	;; [unrolled: 4-line block ×4, first 2 shown]
	v_fmac_f32_e32 v109, 0xbeb58ec6, v98
	v_mul_f32_e32 v131, 0xbf29c268, v82
	v_add_f32_e32 v109, v109, v108
	v_fma_f32 v108, v22, s17, -v131
	v_mul_f32_e32 v132, 0x3f7e222b, v83
	v_add_f32_e32 v108, v24, v108
	v_fma_f32 v110, v23, s18, -v132
	v_mul_f32_e32 v133, 0xbf52af12, v84
	v_add_f32_e32 v108, v110, v108
	v_fma_f32 v110, v49, s14, -v133
	v_mul_f32_e32 v134, 0x3e750f2a, v86
	v_add_f32_e32 v108, v110, v108
	v_fma_f32 v110, v51, s16, -v134
	v_mul_f32_e32 v135, 0x3eedf032, v88
	v_add_f32_e32 v108, v110, v108
	v_fma_f32 v110, v77, s19, -v135
	v_mul_f32_e32 v136, 0xbf6f5d39, v91
	v_add_f32_e32 v108, v110, v108
	v_fma_f32 v110, v79, s15, -v136
	v_mul_f32_e32 v137, 0xbf788fa5, v85
	v_add_f32_e32 v108, v110, v108
	v_mov_b32_e32 v110, v137
	v_mul_f32_e32 v138, 0x3f62ad3f, v87
	v_fmac_f32_e32 v110, 0x3e750f2a, v48
	v_mov_b32_e32 v111, v138
	v_add_f32_e32 v110, v25, v110
	v_fmac_f32_e32 v111, 0xbeedf032, v50
	v_mul_f32_e32 v139, 0xbf3f9e67, v90
	v_add_f32_e32 v110, v111, v110
	v_mov_b32_e32 v111, v139
	v_fmac_f32_e32 v111, 0x3f29c268, v76
	v_mul_f32_e32 v140, 0x3f116cb1, v92
	v_add_f32_e32 v110, v111, v110
	v_mov_b32_e32 v111, v140
	;; [unrolled: 4-line block ×4, first 2 shown]
	v_fma_f32 v112, v85, s17, -v112
	v_fmac_f32_e32 v111, 0xbf7e222b, v81
	v_mul_f32_e32 v143, 0xbe750f2a, v82
	v_add_f32_e32 v112, v25, v112
	v_fma_f32 v113, v87, s18, -v113
	v_add_f32_e32 v111, v111, v110
	v_mov_b32_e32 v110, v143
	v_mul_f32_e32 v144, 0x3eedf032, v83
	v_add_f32_e32 v112, v113, v112
	v_fma_f32 v113, v90, s14, -v114
	v_fmac_f32_e32 v110, 0xbf788fa5, v22
	v_mov_b32_e32 v145, v144
	v_add_f32_e32 v112, v113, v112
	v_fma_f32 v113, v92, s16, -v115
	v_add_f32_e32 v110, v24, v110
	v_fmac_f32_e32 v145, 0x3f62ad3f, v23
	v_add_f32_e32 v112, v113, v112
	v_fma_f32 v113, v95, s19, -v129
	v_mul_f32_e32 v129, 0xbeb58ec6, v85
	v_add_f32_e32 v110, v145, v110
	v_mul_f32_e32 v145, 0xbf29c268, v84
	v_add_f32_e32 v112, v113, v112
	v_fma_f32 v113, v98, s15, -v130
	v_mov_b32_e32 v114, v129
	v_mul_f32_e32 v130, 0xbf3f9e67, v87
	v_mov_b32_e32 v146, v145
	v_fmac_f32_e32 v131, 0xbf3f9e67, v22
	v_fmac_f32_e32 v114, 0x3f6f5d39, v48
	v_mov_b32_e32 v115, v130
	v_fmac_f32_e32 v146, 0xbf3f9e67, v49
	v_add_f32_e32 v113, v113, v112
	v_add_f32_e32 v112, v24, v131
	;; [unrolled: 1-line block ×3, first 2 shown]
	v_fmac_f32_e32 v115, 0xbf29c268, v50
	v_mul_f32_e32 v131, 0x3f62ad3f, v90
	v_add_f32_e32 v110, v146, v110
	v_mul_f32_e32 v146, 0x3f52af12, v86
	v_fmac_f32_e32 v132, 0x3df6dbef, v23
	v_add_f32_e32 v114, v115, v114
	v_mov_b32_e32 v115, v131
	v_mov_b32_e32 v147, v146
	v_add_f32_e32 v112, v132, v112
	v_fmac_f32_e32 v115, 0xbeedf032, v76
	v_mul_f32_e32 v132, 0x3df6dbef, v92
	v_fmac_f32_e32 v147, 0x3f116cb1, v51
	v_fmac_f32_e32 v133, 0x3f116cb1, v49
	v_add_f32_e32 v114, v115, v114
	v_mov_b32_e32 v115, v132
	v_add_f32_e32 v110, v147, v110
	v_mul_f32_e32 v147, 0xbf6f5d39, v88
	v_add_f32_e32 v112, v133, v112
	v_fmac_f32_e32 v115, 0x3f7e222b, v78
	v_mul_f32_e32 v133, 0xbf788fa5, v95
	v_mov_b32_e32 v148, v147
	v_fmac_f32_e32 v134, 0xbf788fa5, v51
	v_add_f32_e32 v114, v115, v114
	v_mov_b32_e32 v115, v133
	v_fmac_f32_e32 v148, 0xbeb58ec6, v77
	v_add_f32_e32 v112, v134, v112
	v_fmac_f32_e32 v115, 0xbe750f2a, v80
	v_mul_f32_e32 v134, 0x3f116cb1, v98
	v_add_f32_e32 v110, v148, v110
	v_mul_f32_e32 v148, 0x3f7e222b, v91
	v_fmac_f32_e32 v135, 0x3f62ad3f, v77
	v_add_f32_e32 v114, v115, v114
	v_mov_b32_e32 v115, v134
	v_mov_b32_e32 v149, v148
	v_add_f32_e32 v112, v135, v112
	v_fmac_f32_e32 v136, 0xbeb58ec6, v79
	v_fmac_f32_e32 v115, 0xbf52af12, v81
	v_mul_f32_e32 v135, 0xbf6f5d39, v82
	v_fmac_f32_e32 v149, 0x3df6dbef, v79
	v_add_f32_e32 v112, v136, v112
	v_add_f32_e32 v115, v115, v114
	v_mov_b32_e32 v114, v135
	v_mul_f32_e32 v136, 0x3f29c268, v83
	v_fma_f32 v116, v85, s18, -v116
	v_add_f32_e32 v110, v149, v110
	v_fmac_f32_e32 v114, 0xbeb58ec6, v22
	v_mov_b32_e32 v149, v136
	v_add_f32_e32 v116, v25, v116
	v_fma_f32 v117, v87, s16, -v117
	v_add_f32_e32 v114, v24, v114
	v_fmac_f32_e32 v149, 0xbf3f9e67, v23
	v_add_f32_e32 v116, v117, v116
	v_fma_f32 v117, v90, s15, -v119
	v_add_f32_e32 v114, v149, v114
	v_mul_f32_e32 v149, 0x3eedf032, v84
	v_add_f32_e32 v116, v117, v116
	v_fma_f32 v117, v92, s19, -v120
	v_mul_f32_e32 v118, 0x3f116cb1, v22
	v_mov_b32_e32 v150, v149
	v_add_f32_e32 v116, v117, v116
	v_fma_f32 v117, v95, s14, -v121
	v_fmac_f32_e32 v123, 0x3df6dbef, v22
	v_fmac_f32_e32 v150, 0x3f62ad3f, v49
	v_mul_f32_e32 v154, 0xbeb58ec6, v23
	v_add_f32_e32 v116, v117, v116
	v_add_f32_e32 v117, v24, v123
	v_fmac_f32_e32 v124, 0xbf788fa5, v23
	v_add_f32_e32 v89, v118, v89
	v_add_f32_e32 v114, v150, v114
	v_mul_f32_e32 v150, 0xbf7e222b, v86
	v_mul_f32_e32 v119, 0xbf788fa5, v49
	v_add_f32_e32 v117, v124, v117
	v_fmac_f32_e32 v125, 0xbeb58ec6, v49
	v_add_f32_e32 v89, v24, v89
	v_add_f32_e32 v93, v154, v93
	v_mov_b32_e32 v151, v150
	v_mul_f32_e32 v121, 0xbf3f9e67, v51
	v_add_f32_e32 v117, v125, v117
	v_fmac_f32_e32 v126, 0x3f62ad3f, v51
	v_add_f32_e32 v89, v93, v89
	v_add_f32_e32 v93, v119, v96
	v_fmac_f32_e32 v151, 0x3df6dbef, v51
	v_mul_f32_e32 v124, 0x3df6dbef, v77
	v_add_f32_e32 v117, v126, v117
	v_fmac_f32_e32 v127, 0x3f116cb1, v77
	v_add_f32_e32 v89, v93, v89
	v_add_f32_e32 v93, v121, v99
	;; [unrolled: 1-line block ×3, first 2 shown]
	v_mul_f32_e32 v151, 0x3e750f2a, v88
	v_add_f32_e32 v126, v127, v117
	v_mul_f32_e32 v127, 0x3f62ad3f, v79
	v_add_f32_e32 v89, v93, v89
	v_add_f32_e32 v93, v124, v101
	v_mov_b32_e32 v152, v151
	v_add_f32_e32 v89, v93, v89
	v_add_f32_e32 v93, v127, v103
	v_fmac_f32_e32 v152, 0xbf788fa5, v77
	v_add_f32_e32 v93, v93, v89
	v_mul_f32_e32 v89, 0x3f62ad3f, v85
	v_add_f32_e32 v114, v152, v114
	v_mul_f32_e32 v152, 0x3f52af12, v91
	v_mov_b32_e32 v85, v89
	v_mul_f32_e32 v87, 0x3f116cb1, v87
	v_mov_b32_e32 v153, v152
	v_fmac_f32_e32 v85, 0x3eedf032, v48
	v_mov_b32_e32 v96, v87
	v_add_f32_e32 v26, v26, v24
	v_fmac_f32_e32 v137, 0xbe750f2a, v48
	v_fmac_f32_e32 v153, 0x3f116cb1, v79
	v_add_f32_e32 v85, v25, v85
	v_fmac_f32_e32 v96, 0x3f52af12, v50
	v_mul_f32_e32 v90, 0x3df6dbef, v90
	v_add_f32_e32 v26, v28, v26
	v_add_f32_e32 v28, v25, v137
	v_fmac_f32_e32 v138, 0x3eedf032, v50
	v_add_f32_e32 v114, v153, v114
	v_mul_f32_e32 v153, 0xbf52af12, v48
	v_add_f32_e32 v85, v96, v85
	v_mov_b32_e32 v96, v90
	v_add_f32_e32 v28, v138, v28
	v_fmac_f32_e32 v139, 0xbf29c268, v76
	v_mul_f32_e32 v155, 0xbf6f5d39, v50
	v_sub_f32_e32 v94, v94, v153
	v_fmac_f32_e32 v96, 0x3f7e222b, v76
	v_mul_f32_e32 v92, 0xbeb58ec6, v92
	v_add_f32_e32 v28, v139, v28
	v_fmac_f32_e32 v140, 0x3f52af12, v78
	v_mul_f32_e32 v120, 0xbe750f2a, v76
	v_add_f32_e32 v94, v25, v94
	v_sub_f32_e32 v97, v97, v155
	v_add_f32_e32 v85, v96, v85
	v_mov_b32_e32 v96, v92
	v_add_f32_e32 v28, v140, v28
	v_fmac_f32_e32 v141, 0xbf6f5d39, v80
	v_mul_f32_e32 v123, 0x3f29c268, v78
	v_add_f32_e32 v94, v97, v94
	v_sub_f32_e32 v97, v100, v120
	v_fmac_f32_e32 v96, 0x3f6f5d39, v78
	v_mul_f32_e32 v95, 0xbf3f9e67, v95
	v_add_f32_e32 v27, v27, v25
	v_add_f32_e32 v28, v141, v28
	v_fmac_f32_e32 v142, 0x3f7e222b, v81
	v_mul_f32_e32 v125, 0x3f7e222b, v80
	v_add_f32_e32 v94, v97, v94
	v_sub_f32_e32 v97, v102, v123
	v_add_f32_e32 v85, v96, v85
	v_mov_b32_e32 v96, v95
	v_add_f32_e32 v27, v29, v27
	v_add_f32_e32 v29, v142, v28
	v_fma_f32 v28, v22, s16, -v143
	v_fma_f32 v117, v98, s17, -v122
	v_mul_f32_e32 v122, 0x3eedf032, v81
	v_add_f32_e32 v94, v97, v94
	v_sub_f32_e32 v97, v104, v125
	v_fmac_f32_e32 v96, 0x3f29c268, v80
	v_add_f32_e32 v26, v30, v26
	v_add_f32_e32 v28, v24, v28
	v_fma_f32 v30, v23, s19, -v144
	v_add_f32_e32 v94, v97, v94
	v_sub_f32_e32 v97, v105, v122
	v_add_f32_e32 v85, v96, v85
	v_mul_f32_e32 v96, 0xbf788fa5, v98
	v_add_f32_e32 v28, v30, v28
	v_fma_f32 v30, v49, s17, -v145
	v_add_f32_e32 v94, v97, v94
	v_mov_b32_e32 v97, v96
	v_add_f32_e32 v28, v30, v28
	v_fma_f32 v30, v51, s14, -v146
	v_fmac_f32_e32 v97, 0x3e750f2a, v81
	v_mul_f32_e32 v82, 0xbeedf032, v82
	v_add_f32_e32 v28, v30, v28
	v_fma_f32 v30, v77, s15, -v147
	v_add_f32_e32 v85, v97, v85
	v_mov_b32_e32 v97, v82
	v_mul_f32_e32 v83, 0xbf52af12, v83
	v_add_f32_e32 v28, v30, v28
	v_fma_f32 v30, v79, s18, -v148
	v_fmac_f32_e32 v129, 0xbf6f5d39, v48
	v_fmac_f32_e32 v97, 0x3f62ad3f, v22
	v_mov_b32_e32 v98, v83
	v_add_f32_e32 v28, v30, v28
	v_add_f32_e32 v30, v25, v129
	v_fmac_f32_e32 v130, 0x3f29c268, v50
	v_add_f32_e32 v97, v24, v97
	v_fmac_f32_e32 v98, 0x3f116cb1, v23
	;; [unrolled: 2-line block ×3, first 2 shown]
	v_add_f32_e32 v97, v98, v97
	v_mul_f32_e32 v98, 0xbf7e222b, v84
	v_add_f32_e32 v27, v31, v27
	v_add_f32_e32 v30, v131, v30
	v_fmac_f32_e32 v132, 0xbf7e222b, v78
	v_mov_b32_e32 v84, v98
	v_add_f32_e32 v27, v33, v27
	v_add_f32_e32 v26, v32, v26
	v_add_f32_e32 v30, v132, v30
	v_fmac_f32_e32 v133, 0x3e750f2a, v80
	v_fmac_f32_e32 v84, 0x3df6dbef, v49
	v_mul_f32_e32 v86, 0xbf6f5d39, v86
	v_add_f32_e32 v27, v35, v27
	v_add_f32_e32 v26, v34, v26
	;; [unrolled: 1-line block ×3, first 2 shown]
	v_fmac_f32_e32 v134, 0x3f52af12, v81
	v_add_f32_e32 v84, v84, v97
	v_mov_b32_e32 v97, v86
	v_add_f32_e32 v27, v37, v27
	v_add_f32_e32 v26, v36, v26
	;; [unrolled: 1-line block ×3, first 2 shown]
	v_fma_f32 v30, v22, s15, -v135
	v_fma_f32 v22, v22, s19, -v82
	v_fmac_f32_e32 v97, 0xbeb58ec6, v51
	v_mul_f32_e32 v88, 0xbf29c268, v88
	v_add_f32_e32 v27, v39, v27
	v_add_f32_e32 v26, v38, v26
	v_fma_f32 v32, v23, s17, -v136
	v_fmac_f32_e32 v89, 0xbeedf032, v48
	v_add_f32_e32 v22, v24, v22
	v_fma_f32 v23, v23, s14, -v83
	v_add_f32_e32 v84, v97, v84
	v_mov_b32_e32 v97, v88
	v_add_f32_e32 v27, v41, v27
	v_add_f32_e32 v26, v40, v26
	;; [unrolled: 1-line block ×4, first 2 shown]
	v_fmac_f32_e32 v87, 0xbf52af12, v50
	v_add_f32_e32 v22, v23, v22
	v_fma_f32 v23, v49, s18, -v98
	v_fmac_f32_e32 v97, 0xbf3f9e67, v77
	v_mul_f32_e32 v91, 0xbe750f2a, v91
	v_add_f32_e32 v27, v43, v27
	v_add_f32_e32 v26, v42, v26
	;; [unrolled: 1-line block ×3, first 2 shown]
	v_fma_f32 v32, v49, s19, -v149
	v_add_f32_e32 v25, v87, v25
	v_fmac_f32_e32 v90, 0xbf7e222b, v76
	v_add_f32_e32 v22, v23, v22
	v_fma_f32 v23, v51, s15, -v86
	v_add_f32_e32 v84, v97, v84
	v_mov_b32_e32 v97, v91
	v_add_f32_e32 v27, v45, v27
	v_add_f32_e32 v26, v44, v26
	;; [unrolled: 1-line block ×3, first 2 shown]
	v_fma_f32 v32, v51, s18, -v150
	v_add_f32_e32 v25, v90, v25
	v_fmac_f32_e32 v92, 0xbf6f5d39, v78
	v_add_f32_e32 v22, v23, v22
	v_fma_f32 v23, v77, s17, -v88
	v_fmac_f32_e32 v97, 0xbf788fa5, v79
	v_add_f32_e32 v27, v47, v27
	v_add_f32_e32 v26, v46, v26
	;; [unrolled: 1-line block ×3, first 2 shown]
	v_fma_f32 v32, v77, s16, -v151
	v_add_f32_e32 v25, v92, v25
	v_fmac_f32_e32 v95, 0xbf29c268, v80
	v_add_f32_e32 v22, v23, v22
	v_fma_f32 v23, v79, s16, -v91
	v_fmac_f32_e32 v128, 0xbf3f9e67, v79
	v_add_f32_e32 v84, v97, v84
	v_add_f32_e32 v27, v54, v27
	;; [unrolled: 1-line block ×4, first 2 shown]
	v_fma_f32 v32, v79, s14, -v152
	v_add_f32_e32 v25, v95, v25
	v_fmac_f32_e32 v96, 0xbe750f2a, v81
	v_add_f32_e32 v24, v23, v22
	v_lshl_add_u32 v22, v71, 3, v70
	v_add_f32_e32 v117, v117, v116
	v_add_f32_e32 v116, v128, v126
	;; [unrolled: 1-line block ×4, first 2 shown]
	ds_write2_b64 v22, v[26:27], v[84:85] offset1:1
	ds_write2_b64 v22, v[93:94], v[116:117] offset0:2 offset1:3
	ds_write2_b64 v22, v[114:115], v[112:113] offset0:4 offset1:5
	;; [unrolled: 1-line block ×5, first 2 shown]
	ds_write_b64 v22, v[24:25] offset:96
.LBB0_17:
	s_or_b64 exec, exec, s[12:13]
	s_waitcnt lgkmcnt(0)
	; wave barrier
	s_waitcnt lgkmcnt(0)
	ds_read2_b64 v[22:25], v72 offset1:26
	ds_read2_b64 v[26:29], v72 offset0:52 offset1:78
	ds_read2_b64 v[30:33], v72 offset0:104 offset1:130
	;; [unrolled: 1-line block ×4, first 2 shown]
	ds_read_b64 v[42:43], v72 offset:2080
	s_waitcnt lgkmcnt(5)
	v_mul_f32_e32 v44, v13, v25
	v_mul_f32_e32 v13, v13, v24
	v_fmac_f32_e32 v44, v12, v24
	v_fma_f32 v12, v12, v25, -v13
	s_waitcnt lgkmcnt(4)
	v_mul_f32_e32 v13, v15, v27
	v_mul_f32_e32 v15, v15, v26
	v_fmac_f32_e32 v13, v14, v26
	v_fma_f32 v14, v14, v27, -v15
	v_mul_f32_e32 v15, v9, v29
	v_mul_f32_e32 v9, v9, v28
	v_fmac_f32_e32 v15, v8, v28
	v_fma_f32 v8, v8, v29, -v9
	s_waitcnt lgkmcnt(3)
	v_mul_f32_e32 v9, v11, v31
	v_mul_f32_e32 v11, v11, v30
	v_fmac_f32_e32 v9, v10, v30
	v_fma_f32 v10, v10, v31, -v11
	;; [unrolled: 9-line block ×4, first 2 shown]
	v_mul_f32_e32 v3, v17, v41
	v_mul_f32_e32 v0, v17, v40
	v_add_f32_e32 v1, v23, v12
	v_fmac_f32_e32 v3, v16, v40
	v_fma_f32 v16, v16, v41, -v0
	s_waitcnt lgkmcnt(0)
	v_mul_f32_e32 v17, v19, v43
	v_mul_f32_e32 v0, v19, v42
	v_add_f32_e32 v1, v1, v14
	v_fmac_f32_e32 v17, v18, v42
	v_fma_f32 v18, v18, v43, -v0
	v_add_f32_e32 v0, v22, v44
	v_add_f32_e32 v1, v1, v8
	;; [unrolled: 1-line block ×15, first 2 shown]
	v_sub_f32_e32 v12, v12, v18
	v_add_f32_e32 v0, v0, v25
	v_add_f32_e32 v1, v1, v18
	v_mul_f32_e32 v18, 0xbf0a6770, v12
	v_mul_f32_e32 v30, 0xbf68dda4, v12
	;; [unrolled: 1-line block ×5, first 2 shown]
	v_add_f32_e32 v0, v0, v3
	v_add_f32_e32 v19, v44, v17
	s_mov_b32 s14, 0x3f575c64
	v_mov_b32_e32 v27, v18
	v_mul_f32_e32 v28, 0x3f575c64, v26
	s_mov_b32 s12, 0x3ed4b147
	v_mov_b32_e32 v31, v30
	v_mul_f32_e32 v32, 0x3ed4b147, v26
	;; [unrolled: 3-line block ×5, first 2 shown]
	v_add_f32_e32 v0, v0, v17
	v_sub_f32_e32 v17, v44, v17
	v_fmac_f32_e32 v27, 0x3f575c64, v19
	v_mov_b32_e32 v29, v28
	v_fma_f32 v18, v19, s14, -v18
	v_fmac_f32_e32 v31, 0x3ed4b147, v19
	v_mov_b32_e32 v33, v32
	v_fma_f32 v30, v19, s12, -v30
	;; [unrolled: 3-line block ×5, first 2 shown]
	v_add_f32_e32 v27, v22, v27
	v_fmac_f32_e32 v29, 0x3f0a6770, v17
	v_add_f32_e32 v18, v22, v18
	v_fmac_f32_e32 v28, 0xbf0a6770, v17
	;; [unrolled: 2-line block ×10, first 2 shown]
	v_add_f32_e32 v19, v13, v3
	v_add_f32_e32 v22, v14, v16
	v_sub_f32_e32 v3, v13, v3
	v_sub_f32_e32 v13, v14, v16
	v_add_f32_e32 v29, v23, v29
	v_add_f32_e32 v28, v23, v28
	;; [unrolled: 1-line block ×10, first 2 shown]
	v_mul_f32_e32 v14, 0xbf68dda4, v13
	v_mul_f32_e32 v23, 0x3ed4b147, v22
	v_mov_b32_e32 v16, v14
	v_mov_b32_e32 v26, v23
	v_fma_f32 v14, v19, s12, -v14
	v_fmac_f32_e32 v23, 0xbf68dda4, v3
	v_fmac_f32_e32 v16, 0x3ed4b147, v19
	v_add_f32_e32 v14, v14, v18
	v_add_f32_e32 v18, v23, v28
	v_mul_f32_e32 v23, 0xbf4178ce, v13
	v_add_f32_e32 v16, v16, v27
	v_mov_b32_e32 v27, v23
	v_fma_f32 v23, v19, s15, -v23
	v_fmac_f32_e32 v26, 0x3f68dda4, v3
	v_fmac_f32_e32 v27, 0xbf27a4f4, v19
	v_mul_f32_e32 v28, 0xbf27a4f4, v22
	v_add_f32_e32 v23, v23, v30
	v_mul_f32_e32 v30, 0x3e903f40, v13
	v_add_f32_e32 v26, v26, v29
	v_add_f32_e32 v27, v27, v31
	v_mov_b32_e32 v29, v28
	v_fmac_f32_e32 v28, 0xbf4178ce, v3
	v_mov_b32_e32 v31, v30
	v_fma_f32 v30, v19, s16, -v30
	v_fmac_f32_e32 v29, 0x3f4178ce, v3
	v_add_f32_e32 v28, v28, v32
	v_fmac_f32_e32 v31, 0xbf75a155, v19
	v_mul_f32_e32 v32, 0xbf75a155, v22
	v_add_f32_e32 v30, v30, v34
	v_mul_f32_e32 v34, 0x3f7d64f0, v13
	v_add_f32_e32 v29, v29, v33
	v_add_f32_e32 v31, v31, v35
	v_mov_b32_e32 v33, v32
	v_fmac_f32_e32 v32, 0x3e903f40, v3
	v_mov_b32_e32 v35, v34
	v_fmac_f32_e32 v33, 0xbe903f40, v3
	v_add_f32_e32 v32, v32, v36
	v_fmac_f32_e32 v35, 0xbe11bafb, v19
	v_mul_f32_e32 v36, 0xbe11bafb, v22
	v_mul_f32_e32 v22, 0x3f575c64, v22
	v_add_f32_e32 v33, v33, v37
	v_add_f32_e32 v35, v35, v39
	v_mov_b32_e32 v37, v36
	v_mov_b32_e32 v39, v22
	v_fmac_f32_e32 v22, 0x3f0a6770, v3
	v_fmac_f32_e32 v37, 0xbf7d64f0, v3
	v_fma_f32 v34, v19, s13, -v34
	v_fmac_f32_e32 v36, 0x3f7d64f0, v3
	v_mul_f32_e32 v13, 0x3f0a6770, v13
	v_fmac_f32_e32 v39, 0xbf0a6770, v3
	v_add_f32_e32 v3, v22, v17
	v_add_f32_e32 v17, v8, v2
	v_sub_f32_e32 v2, v8, v2
	v_add_f32_e32 v34, v34, v38
	v_mov_b32_e32 v38, v13
	v_fma_f32 v13, v19, s14, -v13
	v_mul_f32_e32 v8, 0xbf7d64f0, v2
	v_fmac_f32_e32 v38, 0x3f575c64, v19
	v_add_f32_e32 v12, v13, v12
	v_add_f32_e32 v13, v15, v25
	v_mov_b32_e32 v19, v8
	v_fmac_f32_e32 v19, 0xbe11bafb, v13
	v_sub_f32_e32 v15, v15, v25
	v_add_f32_e32 v16, v19, v16
	v_mul_f32_e32 v19, 0xbe11bafb, v17
	v_mov_b32_e32 v22, v19
	v_fma_f32 v8, v13, s13, -v8
	v_fmac_f32_e32 v19, 0xbf7d64f0, v15
	v_fmac_f32_e32 v22, 0x3f7d64f0, v15
	v_add_f32_e32 v8, v8, v14
	v_add_f32_e32 v14, v19, v18
	v_mul_f32_e32 v18, 0x3e903f40, v2
	v_mul_f32_e32 v25, 0xbf75a155, v17
	v_add_f32_e32 v22, v22, v26
	v_mov_b32_e32 v19, v18
	v_mov_b32_e32 v26, v25
	v_fma_f32 v18, v13, s16, -v18
	v_fmac_f32_e32 v25, 0x3e903f40, v15
	v_fmac_f32_e32 v19, 0xbf75a155, v13
	v_add_f32_e32 v18, v18, v23
	v_add_f32_e32 v23, v25, v28
	v_mul_f32_e32 v25, 0x3f68dda4, v2
	v_add_f32_e32 v19, v19, v27
	v_mov_b32_e32 v27, v25
	v_fma_f32 v25, v13, s12, -v25
	v_fmac_f32_e32 v27, 0x3ed4b147, v13
	v_add_f32_e32 v25, v25, v30
	v_mul_f32_e32 v30, 0xbf0a6770, v2
	v_fmac_f32_e32 v26, 0xbe903f40, v15
	v_add_f32_e32 v27, v27, v31
	v_mul_f32_e32 v28, 0x3ed4b147, v17
	v_mov_b32_e32 v31, v30
	v_fma_f32 v30, v13, s14, -v30
	v_mul_f32_e32 v2, 0xbf4178ce, v2
	v_add_f32_e32 v26, v26, v29
	v_mov_b32_e32 v29, v28
	v_fmac_f32_e32 v28, 0x3f68dda4, v15
	v_add_f32_e32 v30, v30, v34
	v_mov_b32_e32 v34, v2
	v_fma_f32 v2, v13, s15, -v2
	v_fmac_f32_e32 v29, 0xbf68dda4, v15
	v_add_f32_e32 v28, v28, v32
	v_fmac_f32_e32 v31, 0x3f575c64, v13
	v_mul_f32_e32 v32, 0x3f575c64, v17
	v_mul_f32_e32 v17, 0xbf27a4f4, v17
	v_add_f32_e32 v2, v2, v12
	v_add_f32_e32 v12, v9, v7
	v_sub_f32_e32 v7, v9, v7
	v_sub_f32_e32 v9, v10, v24
	v_add_f32_e32 v29, v29, v33
	v_add_f32_e32 v31, v31, v35
	v_mov_b32_e32 v33, v32
	v_fmac_f32_e32 v34, 0xbf27a4f4, v13
	v_mov_b32_e32 v35, v17
	v_add_f32_e32 v13, v10, v24
	v_mul_f32_e32 v10, 0xbf4178ce, v9
	v_fmac_f32_e32 v33, 0x3f0a6770, v15
	v_fmac_f32_e32 v32, 0xbf0a6770, v15
	;; [unrolled: 1-line block ×4, first 2 shown]
	v_mov_b32_e32 v15, v10
	v_fmac_f32_e32 v15, 0xbf27a4f4, v12
	v_add_f32_e32 v15, v15, v16
	v_mul_f32_e32 v16, 0xbf27a4f4, v13
	v_add_f32_e32 v3, v17, v3
	v_mov_b32_e32 v17, v16
	v_fma_f32 v10, v12, s15, -v10
	v_fmac_f32_e32 v16, 0xbf4178ce, v7
	v_add_f32_e32 v8, v10, v8
	v_add_f32_e32 v10, v16, v14
	v_mul_f32_e32 v14, 0x3f7d64f0, v9
	v_mov_b32_e32 v16, v14
	v_fmac_f32_e32 v16, 0xbe11bafb, v12
	v_fmac_f32_e32 v17, 0x3f4178ce, v7
	v_add_f32_e32 v16, v16, v19
	v_mul_f32_e32 v19, 0xbe11bafb, v13
	v_fma_f32 v14, v12, s13, -v14
	v_add_f32_e32 v17, v17, v22
	v_mov_b32_e32 v22, v19
	v_add_f32_e32 v14, v14, v18
	v_fmac_f32_e32 v19, 0x3f7d64f0, v7
	v_mul_f32_e32 v18, 0xbf0a6770, v9
	v_add_f32_e32 v23, v19, v23
	v_mov_b32_e32 v19, v18
	v_fmac_f32_e32 v19, 0x3f575c64, v12
	v_fmac_f32_e32 v22, 0xbf7d64f0, v7
	v_add_f32_e32 v24, v19, v27
	v_mul_f32_e32 v19, 0x3f575c64, v13
	v_fma_f32 v18, v12, s14, -v18
	v_add_f32_e32 v22, v22, v26
	v_mov_b32_e32 v26, v19
	v_add_f32_e32 v25, v18, v25
	v_fmac_f32_e32 v19, 0xbf0a6770, v7
	v_mul_f32_e32 v18, 0xbe903f40, v9
	v_add_f32_e32 v27, v19, v28
	v_mov_b32_e32 v19, v18
	v_fmac_f32_e32 v19, 0xbf75a155, v12
	v_fma_f32 v18, v12, s16, -v18
	v_mul_f32_e32 v9, 0x3f68dda4, v9
	v_add_f32_e32 v36, v36, v40
	v_add_f32_e32 v38, v38, v42
	v_fmac_f32_e32 v26, 0x3f0a6770, v7
	v_add_f32_e32 v28, v19, v31
	v_mul_f32_e32 v19, 0xbf75a155, v13
	v_add_f32_e32 v30, v18, v30
	v_mov_b32_e32 v18, v9
	v_add_f32_e32 v37, v37, v41
	v_add_f32_e32 v39, v39, v43
	;; [unrolled: 1-line block ×5, first 2 shown]
	v_mov_b32_e32 v29, v19
	v_fmac_f32_e32 v19, 0xbe903f40, v7
	v_fmac_f32_e32 v18, 0x3ed4b147, v12
	v_mul_f32_e32 v13, 0x3ed4b147, v13
	v_add_f32_e32 v33, v33, v37
	v_add_f32_e32 v35, v35, v39
	;; [unrolled: 1-line block ×4, first 2 shown]
	v_mov_b32_e32 v18, v13
	v_add_f32_e32 v37, v4, v6
	v_sub_f32_e32 v39, v4, v6
	v_fmac_f32_e32 v29, 0x3e903f40, v7
	v_fmac_f32_e32 v18, 0xbf68dda4, v7
	v_fma_f32 v9, v12, s12, -v9
	v_fmac_f32_e32 v13, 0x3f68dda4, v7
	v_add_f32_e32 v36, v11, v5
	v_sub_f32_e32 v38, v11, v5
	v_mul_f32_e32 v4, 0xbe903f40, v39
	v_mul_f32_e32 v5, 0xbf75a155, v37
	v_add_f32_e32 v29, v29, v33
	v_add_f32_e32 v33, v18, v35
	;; [unrolled: 1-line block ×4, first 2 shown]
	v_mov_b32_e32 v2, v4
	v_mov_b32_e32 v3, v5
	v_fma_f32 v4, v36, s16, -v4
	v_fmac_f32_e32 v5, 0xbe903f40, v38
	v_mul_f32_e32 v6, 0x3f0a6770, v39
	v_mul_f32_e32 v7, 0x3f575c64, v37
	v_fmac_f32_e32 v2, 0xbf75a155, v36
	v_add_f32_e32 v18, v4, v8
	v_add_f32_e32 v19, v5, v10
	v_mov_b32_e32 v4, v6
	v_mov_b32_e32 v5, v7
	v_fma_f32 v6, v36, s14, -v6
	v_add_f32_e32 v2, v2, v15
	v_fmac_f32_e32 v5, 0xbf0a6770, v38
	v_add_f32_e32 v6, v6, v14
	v_fmac_f32_e32 v7, 0x3f0a6770, v38
	v_mul_f32_e32 v10, 0xbf4178ce, v39
	v_mul_f32_e32 v11, 0xbf27a4f4, v37
	;; [unrolled: 1-line block ×4, first 2 shown]
	v_fmac_f32_e32 v3, 0x3e903f40, v38
	v_fmac_f32_e32 v4, 0x3f575c64, v36
	v_add_f32_e32 v5, v5, v22
	v_add_f32_e32 v7, v7, v23
	v_mov_b32_e32 v8, v10
	v_mov_b32_e32 v9, v11
	;; [unrolled: 1-line block ×4, first 2 shown]
	v_mul_f32_e32 v22, 0xbf7d64f0, v39
	v_mul_f32_e32 v23, 0xbe11bafb, v37
	v_add_f32_e32 v3, v3, v17
	v_add_f32_e32 v4, v4, v16
	v_fmac_f32_e32 v8, 0xbf27a4f4, v36
	v_fmac_f32_e32 v9, 0x3f4178ce, v38
	v_fma_f32 v10, v36, s15, -v10
	v_fmac_f32_e32 v11, 0xbf4178ce, v38
	v_fmac_f32_e32 v12, 0x3ed4b147, v36
	;; [unrolled: 1-line block ×3, first 2 shown]
	v_fma_f32 v14, v36, s12, -v14
	v_fmac_f32_e32 v15, 0x3f68dda4, v38
	v_mov_b32_e32 v16, v22
	v_mov_b32_e32 v17, v23
	v_fma_f32 v22, v36, s13, -v22
	v_fmac_f32_e32 v23, 0xbf7d64f0, v38
	v_add_f32_e32 v8, v8, v24
	v_add_f32_e32 v9, v9, v26
	;; [unrolled: 1-line block ×8, first 2 shown]
	v_fmac_f32_e32 v16, 0xbe11bafb, v36
	v_fmac_f32_e32 v17, 0x3f7d64f0, v38
	v_add_f32_e32 v22, v22, v34
	v_add_f32_e32 v23, v23, v35
	;; [unrolled: 1-line block ×4, first 2 shown]
	s_waitcnt lgkmcnt(0)
	; wave barrier
	ds_write2_b64 v74, v[0:1], v[2:3] offset1:13
	ds_write2_b64 v74, v[4:5], v[8:9] offset0:26 offset1:39
	ds_write2_b64 v74, v[12:13], v[16:17] offset0:52 offset1:65
	;; [unrolled: 1-line block ×4, first 2 shown]
	ds_write_b64 v74, v[18:19] offset:1040
	s_waitcnt lgkmcnt(0)
	; wave barrier
	s_waitcnt lgkmcnt(0)
	ds_read2_b64 v[4:7], v72 offset1:26
	ds_read2_b64 v[0:3], v72 offset0:104 offset1:143
	ds_read2_b64 v[22:25], v72 offset0:169 offset1:195
	ds_read2_b64 v[8:11], v72 offset0:52 offset1:78
	ds_read2_b64 v[12:15], v72 offset0:221 offset1:247
	v_add_u32_e32 v16, 0x340, v75
	s_and_saveexec_b64 s[12:13], s[2:3]
	s_cbranch_execz .LBB0_19
; %bb.18:
	v_add_u32_e32 v17, 0x400, v72
	ds_read2_b64 v[18:21], v17 offset0:2 offset1:145
.LBB0_19:
	s_or_b64 exec, exec, s[12:13]
	s_waitcnt lgkmcnt(3)
	v_mul_f32_e32 v17, v58, v3
	v_fmac_f32_e32 v17, v57, v2
	v_mul_f32_e32 v2, v58, v2
	v_fma_f32 v3, v57, v3, -v2
	s_waitcnt lgkmcnt(2)
	v_mul_f32_e32 v26, v60, v23
	v_mul_f32_e32 v2, v60, v22
	v_fmac_f32_e32 v26, v59, v22
	v_fma_f32 v22, v59, v23, -v2
	v_mul_f32_e32 v23, v62, v25
	v_mul_f32_e32 v2, v62, v24
	v_fmac_f32_e32 v23, v61, v24
	v_fma_f32 v24, v61, v25, -v2
	s_waitcnt lgkmcnt(0)
	v_mul_f32_e32 v2, v64, v12
	v_mul_f32_e32 v25, v64, v13
	v_fma_f32 v27, v63, v13, -v2
	v_mul_f32_e32 v28, v66, v15
	v_mul_f32_e32 v2, v66, v14
	v_fmac_f32_e32 v25, v63, v12
	v_fmac_f32_e32 v28, v65, v14
	v_fma_f32 v29, v65, v15, -v2
	v_sub_f32_e32 v2, v4, v17
	v_sub_f32_e32 v3, v5, v3
	;; [unrolled: 1-line block ×4, first 2 shown]
	v_fma_f32 v4, v4, 2.0, -v2
	v_fma_f32 v5, v5, 2.0, -v3
	v_fma_f32 v6, v6, 2.0, -v12
	v_fma_f32 v7, v7, 2.0, -v13
	v_sub_f32_e32 v14, v8, v23
	v_sub_f32_e32 v15, v9, v24
	;; [unrolled: 1-line block ×6, first 2 shown]
	v_fma_f32 v8, v8, 2.0, -v14
	v_fma_f32 v9, v9, 2.0, -v15
	;; [unrolled: 1-line block ×6, first 2 shown]
	ds_write2_b64 v73, v[4:5], v[6:7] offset1:26
	ds_write2_b64 v73, v[12:13], v[14:15] offset0:169 offset1:195
	ds_write2_b64 v73, v[8:9], v[10:11] offset0:52 offset1:78
	ds_write_b64 v73, v[22:23] offset:1768
	ds_write2_b64 v73, v[0:1], v[2:3] offset0:104 offset1:143
	ds_write_b64 v16, v[24:25] offset:1144
	s_and_saveexec_b64 s[12:13], s[2:3]
	s_cbranch_execz .LBB0_21
; %bb.20:
	v_mul_f32_e32 v0, v56, v20
	v_fma_f32 v0, v55, v21, -v0
	v_sub_f32_e32 v1, v19, v0
	v_mul_f32_e32 v0, v56, v21
	v_fmac_f32_e32 v0, v55, v20
	v_sub_f32_e32 v0, v18, v0
	v_fma_f32 v3, v19, 2.0, -v1
	v_fma_f32 v2, v18, 2.0, -v0
	v_add_u32_e32 v4, 0x400, v73
	ds_write2_b64 v4, v[2:3], v[0:1] offset0:2 offset1:145
.LBB0_21:
	s_or_b64 exec, exec, s[12:13]
	s_waitcnt lgkmcnt(0)
	; wave barrier
	s_waitcnt lgkmcnt(0)
	s_and_b64 exec, exec, s[0:1]
	s_cbranch_execz .LBB0_23
; %bb.22:
	global_load_dwordx2 v[8:9], v67, s[8:9]
	global_load_dwordx2 v[10:11], v67, s[8:9] offset:176
	global_load_dwordx2 v[12:13], v67, s[8:9] offset:352
	;; [unrolled: 1-line block ×4, first 2 shown]
	ds_read_b64 v[20:21], v73
	global_load_dwordx2 v[24:25], v67, s[8:9] offset:880
	global_load_dwordx2 v[26:27], v67, s[8:9] offset:1056
	;; [unrolled: 1-line block ×3, first 2 shown]
	v_mad_u64_u32 v[18:19], s[0:1], s6, v52, 0
	v_mad_u64_u32 v[22:23], s[2:3], s4, v68, 0
	s_mul_i32 s3, s5, 0xb0
	s_mul_hi_u32 s6, s4, 0xb0
	s_add_i32 s3, s6, s3
	s_waitcnt lgkmcnt(0)
	v_mad_u64_u32 v[30:31], s[6:7], s7, v52, v[19:20]
	s_mul_i32 s2, s4, 0xb0
	v_mov_b32_e32 v33, s11
	v_mov_b32_e32 v19, v30
	v_lshlrev_b64 v[18:19], 3, v[18:19]
	v_lshl_add_u32 v36, v69, 3, v67
	v_add_co_u32_e32 v18, vcc, s10, v18
	v_addc_co_u32_e32 v19, vcc, v33, v19, vcc
	ds_read2_b64 v[0:3], v36 offset0:22 offset1:44
	ds_read2_b64 v[4:7], v36 offset0:66 offset1:88
	v_mov_b32_e32 v34, s3
	s_mov_b32 s0, 0x55ee191
	s_mov_b32 s1, 0x3f6ca4b3
	v_mov_b32_e32 v37, s3
	s_waitcnt vmcnt(6) lgkmcnt(1)
	v_mul_f32_e32 v33, v1, v11
	v_mul_f32_e32 v11, v0, v11
	s_waitcnt vmcnt(4) lgkmcnt(0)
	v_mul_f32_e32 v35, v5, v15
	s_waitcnt vmcnt(2)
	v_mad_u64_u32 v[31:32], s[4:5], s5, v68, v[23:24]
	v_mov_b32_e32 v32, s3
	v_mul_f32_e32 v15, v4, v15
	v_mov_b32_e32 v23, v31
	v_lshlrev_b64 v[22:23], 3, v[22:23]
	v_fmac_f32_e32 v33, v0, v10
	v_add_co_u32_e32 v18, vcc, v18, v22
	v_addc_co_u32_e32 v19, vcc, v19, v23, vcc
	v_add_co_u32_e32 v22, vcc, s2, v18
	v_addc_co_u32_e32 v23, vcc, v19, v34, vcc
	;; [unrolled: 2-line block ×3, first 2 shown]
	v_mul_f32_e32 v32, v21, v9
	v_mul_f32_e32 v9, v20, v9
	;; [unrolled: 1-line block ×4, first 2 shown]
	v_fmac_f32_e32 v32, v20, v8
	v_fma_f32 v8, v8, v21, -v9
	v_fma_f32 v9, v10, v1, -v11
	v_fmac_f32_e32 v34, v2, v12
	v_fma_f32 v12, v12, v3, -v13
	v_cvt_f64_f32_e32 v[0:1], v32
	v_cvt_f64_f32_e32 v[2:3], v8
	v_fmac_f32_e32 v35, v4, v14
	v_fma_f32 v20, v14, v5, -v15
	v_cvt_f64_f32_e32 v[4:5], v33
	v_cvt_f64_f32_e32 v[8:9], v9
	;; [unrolled: 1-line block ×4, first 2 shown]
	v_mul_f64 v[0:1], v[0:1], s[0:1]
	v_mul_f64 v[2:3], v[2:3], s[0:1]
	v_mul_f64 v[4:5], v[4:5], s[0:1]
	v_mul_f64 v[8:9], v[8:9], s[0:1]
	v_mul_f64 v[10:11], v[10:11], s[0:1]
	v_mul_f64 v[12:13], v[12:13], s[0:1]
	v_cvt_f64_f32_e32 v[14:15], v35
	global_load_dwordx2 v[34:35], v67, s[8:9] offset:1408
	v_cvt_f32_f64_e32 v0, v[0:1]
	v_cvt_f32_f64_e32 v1, v[2:3]
	;; [unrolled: 1-line block ×6, first 2 shown]
	global_store_dwordx2 v[18:19], v[0:1], off
	global_store_dwordx2 v[22:23], v[2:3], off
	;; [unrolled: 1-line block ×3, first 2 shown]
	global_load_dwordx2 v[4:5], v67, s[8:9] offset:1584
	v_cvt_f64_f32_e32 v[20:21], v20
	v_mul_f32_e32 v38, v7, v17
	v_mul_f64 v[14:15], v[14:15], s[0:1]
	v_fmac_f32_e32 v38, v6, v16
	v_mul_f64 v[20:21], v[20:21], s[0:1]
	v_cvt_f64_f32_e32 v[32:33], v38
	v_mul_f32_e32 v0, v6, v17
	v_fma_f32 v0, v16, v7, -v0
	v_cvt_f64_f32_e32 v[6:7], v0
	v_mul_f64 v[10:11], v[32:33], s[0:1]
	ds_read2_b64 v[0:3], v36 offset0:110 offset1:132
	v_cvt_f32_f64_e32 v8, v[14:15]
	global_load_dwordx2 v[14:15], v67, s[8:9] offset:1760
	v_cvt_f32_f64_e32 v9, v[20:21]
	v_mul_f64 v[6:7], v[6:7], s[0:1]
	v_add_co_u32_e32 v12, vcc, s2, v30
	v_addc_co_u32_e32 v13, vcc, v31, v37, vcc
	global_store_dwordx2 v[12:13], v[8:9], off
	s_waitcnt lgkmcnt(0)
	v_mul_f32_e32 v9, v1, v25
	v_fmac_f32_e32 v9, v0, v24
	v_cvt_f32_f64_e32 v8, v[10:11]
	v_cvt_f64_f32_e32 v[10:11], v9
	v_cvt_f32_f64_e32 v9, v[6:7]
	v_mul_f32_e32 v0, v0, v25
	v_fma_f32 v0, v24, v1, -v0
	v_mul_f64 v[6:7], v[10:11], s[0:1]
	v_mov_b32_e32 v11, s3
	v_add_co_u32_e32 v10, vcc, s2, v12
	v_addc_co_u32_e32 v11, vcc, v13, v11, vcc
	global_store_dwordx2 v[10:11], v[8:9], off
	global_load_dwordx2 v[8:9], v67, s[8:9] offset:1936
	v_cvt_f64_f32_e32 v[0:1], v0
	v_cvt_f32_f64_e32 v6, v[6:7]
	v_mov_b32_e32 v18, s3
	v_add_co_u32_e32 v10, vcc, s2, v10
	v_mul_f64 v[0:1], v[0:1], s[0:1]
	v_addc_co_u32_e32 v11, vcc, v11, v18, vcc
	v_cvt_f32_f64_e32 v7, v[0:1]
	s_waitcnt vmcnt(10)
	v_mul_f32_e32 v0, v3, v27
	v_fmac_f32_e32 v0, v2, v26
	v_cvt_f64_f32_e32 v[12:13], v0
	v_mul_f32_e32 v0, v2, v27
	v_fma_f32 v0, v26, v3, -v0
	v_cvt_f64_f32_e32 v[16:17], v0
	ds_read2_b64 v[0:3], v36 offset0:154 offset1:176
	global_store_dwordx2 v[10:11], v[6:7], off
	v_mul_f64 v[6:7], v[12:13], s[0:1]
	v_mul_f64 v[12:13], v[16:17], s[0:1]
	v_add_co_u32_e32 v10, vcc, s2, v10
	s_waitcnt vmcnt(10) lgkmcnt(0)
	v_mul_f32_e32 v16, v1, v29
	v_fmac_f32_e32 v16, v0, v28
	v_mul_f32_e32 v0, v0, v29
	v_fma_f32 v0, v28, v1, -v0
	v_cvt_f64_f32_e32 v[0:1], v0
	v_cvt_f64_f32_e32 v[16:17], v16
	v_cvt_f32_f64_e32 v6, v[6:7]
	v_cvt_f32_f64_e32 v7, v[12:13]
	v_mul_f64 v[0:1], v[0:1], s[0:1]
	v_mul_f64 v[12:13], v[16:17], s[0:1]
	v_mov_b32_e32 v16, s3
	v_addc_co_u32_e32 v11, vcc, v11, v16, vcc
	global_store_dwordx2 v[10:11], v[6:7], off
	v_add_co_u32_e32 v10, vcc, s2, v10
	v_cvt_f32_f64_e32 v7, v[0:1]
	s_waitcnt vmcnt(10)
	v_mul_f32_e32 v0, v3, v35
	v_fmac_f32_e32 v0, v2, v34
	v_cvt_f32_f64_e32 v6, v[12:13]
	v_cvt_f64_f32_e32 v[12:13], v0
	v_mul_f32_e32 v0, v2, v35
	v_fma_f32 v0, v34, v3, -v0
	v_cvt_f64_f32_e32 v[16:17], v0
	ds_read2_b64 v[0:3], v36 offset0:198 offset1:220
	v_addc_co_u32_e32 v11, vcc, v11, v18, vcc
	global_store_dwordx2 v[10:11], v[6:7], off
	v_mul_f64 v[6:7], v[12:13], s[0:1]
	v_mul_f64 v[12:13], v[16:17], s[0:1]
	s_waitcnt vmcnt(7) lgkmcnt(0)
	v_mul_f32_e32 v16, v1, v5
	v_fmac_f32_e32 v16, v0, v4
	v_mul_f32_e32 v0, v0, v5
	v_fma_f32 v0, v4, v1, -v0
	v_cvt_f64_f32_e32 v[0:1], v0
	v_cvt_f64_f32_e32 v[16:17], v16
	v_cvt_f32_f64_e32 v4, v[6:7]
	v_cvt_f32_f64_e32 v5, v[12:13]
	v_mul_f64 v[0:1], v[0:1], s[0:1]
	v_mul_f64 v[6:7], v[16:17], s[0:1]
	v_mov_b32_e32 v12, s3
	v_add_co_u32_e32 v10, vcc, s2, v10
	v_addc_co_u32_e32 v11, vcc, v11, v12, vcc
	global_store_dwordx2 v[10:11], v[4:5], off
	v_cvt_f32_f64_e32 v5, v[0:1]
	s_waitcnt vmcnt(7)
	v_mul_f32_e32 v0, v3, v15
	v_fmac_f32_e32 v0, v2, v14
	v_cvt_f32_f64_e32 v4, v[6:7]
	v_cvt_f64_f32_e32 v[6:7], v0
	v_mul_f32_e32 v0, v2, v15
	v_fma_f32 v0, v14, v3, -v0
	v_cvt_f64_f32_e32 v[12:13], v0
	v_add_u32_e32 v0, 0x400, v36
	ds_read2_b64 v[0:3], v0 offset0:114 offset1:136
	v_mov_b32_e32 v16, s3
	v_add_co_u32_e32 v10, vcc, s2, v10
	v_addc_co_u32_e32 v11, vcc, v11, v16, vcc
	global_store_dwordx2 v[10:11], v[4:5], off
	v_mul_f64 v[4:5], v[6:7], s[0:1]
	v_mul_f64 v[6:7], v[12:13], s[0:1]
	s_waitcnt vmcnt(5) lgkmcnt(0)
	v_mul_f32_e32 v12, v1, v9
	v_fmac_f32_e32 v12, v0, v8
	v_mul_f32_e32 v0, v0, v9
	v_fma_f32 v0, v8, v1, -v0
	v_cvt_f64_f32_e32 v[12:13], v12
	v_cvt_f64_f32_e32 v[0:1], v0
	v_cvt_f32_f64_e32 v4, v[4:5]
	v_cvt_f32_f64_e32 v5, v[6:7]
	v_mul_f64 v[6:7], v[12:13], s[0:1]
	v_mul_f64 v[0:1], v[0:1], s[0:1]
	v_mov_b32_e32 v9, s3
	v_add_co_u32_e32 v8, vcc, s2, v10
	v_addc_co_u32_e32 v9, vcc, v11, v9, vcc
	global_store_dwordx2 v[8:9], v[4:5], off
	v_cvt_f32_f64_e32 v4, v[6:7]
	v_cvt_f32_f64_e32 v5, v[0:1]
	v_mov_b32_e32 v1, s3
	v_add_co_u32_e32 v0, vcc, s2, v8
	v_addc_co_u32_e32 v1, vcc, v9, v1, vcc
	global_store_dwordx2 v[0:1], v[4:5], off
	global_load_dwordx2 v[4:5], v67, s[8:9] offset:2112
	v_add_co_u32_e32 v0, vcc, s2, v0
	s_waitcnt vmcnt(0)
	v_mul_f32_e32 v6, v3, v5
	v_fmac_f32_e32 v6, v2, v4
	v_mul_f32_e32 v2, v2, v5
	v_fma_f32 v2, v4, v3, -v2
	v_cvt_f64_f32_e32 v[6:7], v6
	v_cvt_f64_f32_e32 v[2:3], v2
	v_mul_f64 v[4:5], v[6:7], s[0:1]
	v_mul_f64 v[2:3], v[2:3], s[0:1]
	v_cvt_f32_f64_e32 v4, v[4:5]
	v_cvt_f32_f64_e32 v5, v[2:3]
	v_mov_b32_e32 v2, s3
	v_addc_co_u32_e32 v1, vcc, v1, v2, vcc
	global_store_dwordx2 v[0:1], v[4:5], off
.LBB0_23:
	s_endpgm
	.section	.rodata,"a",@progbits
	.p2align	6, 0x0
	.amdhsa_kernel bluestein_single_back_len286_dim1_sp_op_CI_CI
		.amdhsa_group_segment_fixed_size 4576
		.amdhsa_private_segment_fixed_size 0
		.amdhsa_kernarg_size 104
		.amdhsa_user_sgpr_count 6
		.amdhsa_user_sgpr_private_segment_buffer 1
		.amdhsa_user_sgpr_dispatch_ptr 0
		.amdhsa_user_sgpr_queue_ptr 0
		.amdhsa_user_sgpr_kernarg_segment_ptr 1
		.amdhsa_user_sgpr_dispatch_id 0
		.amdhsa_user_sgpr_flat_scratch_init 0
		.amdhsa_user_sgpr_private_segment_size 0
		.amdhsa_uses_dynamic_stack 0
		.amdhsa_system_sgpr_private_segment_wavefront_offset 0
		.amdhsa_system_sgpr_workgroup_id_x 1
		.amdhsa_system_sgpr_workgroup_id_y 0
		.amdhsa_system_sgpr_workgroup_id_z 0
		.amdhsa_system_sgpr_workgroup_info 0
		.amdhsa_system_vgpr_workitem_id 0
		.amdhsa_next_free_vgpr 156
		.amdhsa_next_free_sgpr 20
		.amdhsa_reserve_vcc 1
		.amdhsa_reserve_flat_scratch 0
		.amdhsa_float_round_mode_32 0
		.amdhsa_float_round_mode_16_64 0
		.amdhsa_float_denorm_mode_32 3
		.amdhsa_float_denorm_mode_16_64 3
		.amdhsa_dx10_clamp 1
		.amdhsa_ieee_mode 1
		.amdhsa_fp16_overflow 0
		.amdhsa_exception_fp_ieee_invalid_op 0
		.amdhsa_exception_fp_denorm_src 0
		.amdhsa_exception_fp_ieee_div_zero 0
		.amdhsa_exception_fp_ieee_overflow 0
		.amdhsa_exception_fp_ieee_underflow 0
		.amdhsa_exception_fp_ieee_inexact 0
		.amdhsa_exception_int_div_zero 0
	.end_amdhsa_kernel
	.text
.Lfunc_end0:
	.size	bluestein_single_back_len286_dim1_sp_op_CI_CI, .Lfunc_end0-bluestein_single_back_len286_dim1_sp_op_CI_CI
                                        ; -- End function
	.section	.AMDGPU.csdata,"",@progbits
; Kernel info:
; codeLenInByte = 14484
; NumSgprs: 24
; NumVgprs: 156
; ScratchSize: 0
; MemoryBound: 0
; FloatMode: 240
; IeeeMode: 1
; LDSByteSize: 4576 bytes/workgroup (compile time only)
; SGPRBlocks: 2
; VGPRBlocks: 38
; NumSGPRsForWavesPerEU: 24
; NumVGPRsForWavesPerEU: 156
; Occupancy: 1
; WaveLimiterHint : 1
; COMPUTE_PGM_RSRC2:SCRATCH_EN: 0
; COMPUTE_PGM_RSRC2:USER_SGPR: 6
; COMPUTE_PGM_RSRC2:TRAP_HANDLER: 0
; COMPUTE_PGM_RSRC2:TGID_X_EN: 1
; COMPUTE_PGM_RSRC2:TGID_Y_EN: 0
; COMPUTE_PGM_RSRC2:TGID_Z_EN: 0
; COMPUTE_PGM_RSRC2:TIDIG_COMP_CNT: 0
	.type	__hip_cuid_bf900a5785d6a032,@object ; @__hip_cuid_bf900a5785d6a032
	.section	.bss,"aw",@nobits
	.globl	__hip_cuid_bf900a5785d6a032
__hip_cuid_bf900a5785d6a032:
	.byte	0                               ; 0x0
	.size	__hip_cuid_bf900a5785d6a032, 1

	.ident	"AMD clang version 19.0.0git (https://github.com/RadeonOpenCompute/llvm-project roc-6.4.0 25133 c7fe45cf4b819c5991fe208aaa96edf142730f1d)"
	.section	".note.GNU-stack","",@progbits
	.addrsig
	.addrsig_sym __hip_cuid_bf900a5785d6a032
	.amdgpu_metadata
---
amdhsa.kernels:
  - .args:
      - .actual_access:  read_only
        .address_space:  global
        .offset:         0
        .size:           8
        .value_kind:     global_buffer
      - .actual_access:  read_only
        .address_space:  global
        .offset:         8
        .size:           8
        .value_kind:     global_buffer
      - .actual_access:  read_only
        .address_space:  global
        .offset:         16
        .size:           8
        .value_kind:     global_buffer
      - .actual_access:  read_only
        .address_space:  global
        .offset:         24
        .size:           8
        .value_kind:     global_buffer
      - .actual_access:  read_only
        .address_space:  global
        .offset:         32
        .size:           8
        .value_kind:     global_buffer
      - .offset:         40
        .size:           8
        .value_kind:     by_value
      - .address_space:  global
        .offset:         48
        .size:           8
        .value_kind:     global_buffer
      - .address_space:  global
        .offset:         56
        .size:           8
        .value_kind:     global_buffer
      - .address_space:  global
        .offset:         64
        .size:           8
        .value_kind:     global_buffer
      - .address_space:  global
        .offset:         72
        .size:           8
        .value_kind:     global_buffer
      - .offset:         80
        .size:           4
        .value_kind:     by_value
      - .address_space:  global
        .offset:         88
        .size:           8
        .value_kind:     global_buffer
      - .address_space:  global
        .offset:         96
        .size:           8
        .value_kind:     global_buffer
    .group_segment_fixed_size: 4576
    .kernarg_segment_align: 8
    .kernarg_segment_size: 104
    .language:       OpenCL C
    .language_version:
      - 2
      - 0
    .max_flat_workgroup_size: 52
    .name:           bluestein_single_back_len286_dim1_sp_op_CI_CI
    .private_segment_fixed_size: 0
    .sgpr_count:     24
    .sgpr_spill_count: 0
    .symbol:         bluestein_single_back_len286_dim1_sp_op_CI_CI.kd
    .uniform_work_group_size: 1
    .uses_dynamic_stack: false
    .vgpr_count:     156
    .vgpr_spill_count: 0
    .wavefront_size: 64
amdhsa.target:   amdgcn-amd-amdhsa--gfx906
amdhsa.version:
  - 1
  - 2
...

	.end_amdgpu_metadata
